;; amdgpu-corpus repo=ROCm/rocFFT kind=compiled arch=gfx1100 opt=O3
	.text
	.amdgcn_target "amdgcn-amd-amdhsa--gfx1100"
	.amdhsa_code_object_version 6
	.protected	fft_rtc_back_len425_factors_17_5_5_wgs_51_tpt_17_halfLds_dp_ip_CI_sbrr_dirReg ; -- Begin function fft_rtc_back_len425_factors_17_5_5_wgs_51_tpt_17_halfLds_dp_ip_CI_sbrr_dirReg
	.globl	fft_rtc_back_len425_factors_17_5_5_wgs_51_tpt_17_halfLds_dp_ip_CI_sbrr_dirReg
	.p2align	8
	.type	fft_rtc_back_len425_factors_17_5_5_wgs_51_tpt_17_halfLds_dp_ip_CI_sbrr_dirReg,@function
fft_rtc_back_len425_factors_17_5_5_wgs_51_tpt_17_halfLds_dp_ip_CI_sbrr_dirReg: ; @fft_rtc_back_len425_factors_17_5_5_wgs_51_tpt_17_halfLds_dp_ip_CI_sbrr_dirReg
; %bb.0:
	s_clause 0x1
	s_load_b64 s[12:13], s[0:1], 0x18
	s_load_b128 s[4:7], s[0:1], 0x0
	v_mul_u32_u24_e32 v1, 0xf10, v0
	s_load_b64 s[10:11], s[0:1], 0x50
	s_waitcnt lgkmcnt(0)
	s_load_b64 s[8:9], s[12:13], 0x0
	s_delay_alu instid0(VALU_DEP_1) | instskip(SKIP_2) | instid1(VALU_DEP_3)
	v_lshrrev_b32_e32 v2, 16, v1
	v_mov_b32_e32 v1, 0
	v_cmp_lt_u64_e64 s2, s[6:7], 2
	v_mad_u64_u32 v[136:137], null, s15, 3, v[2:3]
	v_mov_b32_e32 v3, 0
	s_delay_alu instid0(VALU_DEP_4) | instskip(NEXT) | instid1(VALU_DEP_4)
	v_dual_mov_b32 v4, 0 :: v_dual_mov_b32 v137, v1
	s_and_b32 vcc_lo, exec_lo, s2
	s_delay_alu instid0(VALU_DEP_1)
	v_dual_mov_b32 v7, v136 :: v_dual_mov_b32 v8, v137
	s_cbranch_vccnz .LBB0_8
; %bb.1:
	s_load_b64 s[2:3], s[0:1], 0x10
	v_mov_b32_e32 v3, 0
	v_dual_mov_b32 v4, 0 :: v_dual_mov_b32 v5, v136
	s_add_u32 s14, s12, 8
	v_mov_b32_e32 v6, v137
	s_addc_u32 s15, s13, 0
	s_mov_b64 s[18:19], 1
	s_waitcnt lgkmcnt(0)
	s_add_u32 s16, s2, 8
	s_addc_u32 s17, s3, 0
.LBB0_2:                                ; =>This Inner Loop Header: Depth=1
	s_load_b64 s[20:21], s[16:17], 0x0
                                        ; implicit-def: $vgpr7_vgpr8
	s_mov_b32 s2, exec_lo
	s_waitcnt lgkmcnt(0)
	v_or_b32_e32 v2, s21, v6
	s_delay_alu instid0(VALU_DEP_1)
	v_cmpx_ne_u64_e32 0, v[1:2]
	s_xor_b32 s3, exec_lo, s2
	s_cbranch_execz .LBB0_4
; %bb.3:                                ;   in Loop: Header=BB0_2 Depth=1
	v_cvt_f32_u32_e32 v2, s20
	v_cvt_f32_u32_e32 v7, s21
	s_sub_u32 s2, 0, s20
	s_subb_u32 s22, 0, s21
	s_delay_alu instid0(VALU_DEP_1) | instskip(NEXT) | instid1(VALU_DEP_1)
	v_fmac_f32_e32 v2, 0x4f800000, v7
	v_rcp_f32_e32 v2, v2
	s_waitcnt_depctr 0xfff
	v_mul_f32_e32 v2, 0x5f7ffffc, v2
	s_delay_alu instid0(VALU_DEP_1) | instskip(NEXT) | instid1(VALU_DEP_1)
	v_mul_f32_e32 v7, 0x2f800000, v2
	v_trunc_f32_e32 v7, v7
	s_delay_alu instid0(VALU_DEP_1) | instskip(SKIP_1) | instid1(VALU_DEP_2)
	v_fmac_f32_e32 v2, 0xcf800000, v7
	v_cvt_u32_f32_e32 v7, v7
	v_cvt_u32_f32_e32 v2, v2
	s_delay_alu instid0(VALU_DEP_2) | instskip(NEXT) | instid1(VALU_DEP_2)
	v_mul_lo_u32 v8, s2, v7
	v_mul_hi_u32 v9, s2, v2
	v_mul_lo_u32 v10, s22, v2
	s_delay_alu instid0(VALU_DEP_2) | instskip(SKIP_1) | instid1(VALU_DEP_2)
	v_add_nc_u32_e32 v8, v9, v8
	v_mul_lo_u32 v9, s2, v2
	v_add_nc_u32_e32 v8, v8, v10
	s_delay_alu instid0(VALU_DEP_2) | instskip(NEXT) | instid1(VALU_DEP_2)
	v_mul_hi_u32 v10, v2, v9
	v_mul_lo_u32 v11, v2, v8
	v_mul_hi_u32 v12, v2, v8
	v_mul_hi_u32 v13, v7, v9
	v_mul_lo_u32 v9, v7, v9
	v_mul_hi_u32 v14, v7, v8
	v_mul_lo_u32 v8, v7, v8
	v_add_co_u32 v10, vcc_lo, v10, v11
	v_add_co_ci_u32_e32 v11, vcc_lo, 0, v12, vcc_lo
	s_delay_alu instid0(VALU_DEP_2) | instskip(NEXT) | instid1(VALU_DEP_2)
	v_add_co_u32 v9, vcc_lo, v10, v9
	v_add_co_ci_u32_e32 v9, vcc_lo, v11, v13, vcc_lo
	v_add_co_ci_u32_e32 v10, vcc_lo, 0, v14, vcc_lo
	s_delay_alu instid0(VALU_DEP_2) | instskip(NEXT) | instid1(VALU_DEP_2)
	v_add_co_u32 v8, vcc_lo, v9, v8
	v_add_co_ci_u32_e32 v9, vcc_lo, 0, v10, vcc_lo
	s_delay_alu instid0(VALU_DEP_2) | instskip(NEXT) | instid1(VALU_DEP_2)
	v_add_co_u32 v2, vcc_lo, v2, v8
	v_add_co_ci_u32_e32 v7, vcc_lo, v7, v9, vcc_lo
	s_delay_alu instid0(VALU_DEP_2) | instskip(SKIP_1) | instid1(VALU_DEP_3)
	v_mul_hi_u32 v8, s2, v2
	v_mul_lo_u32 v10, s22, v2
	v_mul_lo_u32 v9, s2, v7
	s_delay_alu instid0(VALU_DEP_1) | instskip(SKIP_1) | instid1(VALU_DEP_2)
	v_add_nc_u32_e32 v8, v8, v9
	v_mul_lo_u32 v9, s2, v2
	v_add_nc_u32_e32 v8, v8, v10
	s_delay_alu instid0(VALU_DEP_2) | instskip(NEXT) | instid1(VALU_DEP_2)
	v_mul_hi_u32 v10, v2, v9
	v_mul_lo_u32 v11, v2, v8
	v_mul_hi_u32 v12, v2, v8
	v_mul_hi_u32 v13, v7, v9
	v_mul_lo_u32 v9, v7, v9
	v_mul_hi_u32 v14, v7, v8
	v_mul_lo_u32 v8, v7, v8
	v_add_co_u32 v10, vcc_lo, v10, v11
	v_add_co_ci_u32_e32 v11, vcc_lo, 0, v12, vcc_lo
	s_delay_alu instid0(VALU_DEP_2) | instskip(NEXT) | instid1(VALU_DEP_2)
	v_add_co_u32 v9, vcc_lo, v10, v9
	v_add_co_ci_u32_e32 v9, vcc_lo, v11, v13, vcc_lo
	v_add_co_ci_u32_e32 v10, vcc_lo, 0, v14, vcc_lo
	s_delay_alu instid0(VALU_DEP_2) | instskip(NEXT) | instid1(VALU_DEP_2)
	v_add_co_u32 v8, vcc_lo, v9, v8
	v_add_co_ci_u32_e32 v9, vcc_lo, 0, v10, vcc_lo
	s_delay_alu instid0(VALU_DEP_2) | instskip(NEXT) | instid1(VALU_DEP_2)
	v_add_co_u32 v2, vcc_lo, v2, v8
	v_add_co_ci_u32_e32 v13, vcc_lo, v7, v9, vcc_lo
	s_delay_alu instid0(VALU_DEP_2) | instskip(SKIP_1) | instid1(VALU_DEP_3)
	v_mul_hi_u32 v14, v5, v2
	v_mad_u64_u32 v[9:10], null, v6, v2, 0
	v_mad_u64_u32 v[7:8], null, v5, v13, 0
	;; [unrolled: 1-line block ×3, first 2 shown]
	s_delay_alu instid0(VALU_DEP_2) | instskip(NEXT) | instid1(VALU_DEP_3)
	v_add_co_u32 v2, vcc_lo, v14, v7
	v_add_co_ci_u32_e32 v7, vcc_lo, 0, v8, vcc_lo
	s_delay_alu instid0(VALU_DEP_2) | instskip(NEXT) | instid1(VALU_DEP_2)
	v_add_co_u32 v2, vcc_lo, v2, v9
	v_add_co_ci_u32_e32 v2, vcc_lo, v7, v10, vcc_lo
	v_add_co_ci_u32_e32 v7, vcc_lo, 0, v12, vcc_lo
	s_delay_alu instid0(VALU_DEP_2) | instskip(NEXT) | instid1(VALU_DEP_2)
	v_add_co_u32 v2, vcc_lo, v2, v11
	v_add_co_ci_u32_e32 v9, vcc_lo, 0, v7, vcc_lo
	s_delay_alu instid0(VALU_DEP_2) | instskip(SKIP_1) | instid1(VALU_DEP_3)
	v_mul_lo_u32 v10, s21, v2
	v_mad_u64_u32 v[7:8], null, s20, v2, 0
	v_mul_lo_u32 v11, s20, v9
	s_delay_alu instid0(VALU_DEP_2) | instskip(NEXT) | instid1(VALU_DEP_2)
	v_sub_co_u32 v7, vcc_lo, v5, v7
	v_add3_u32 v8, v8, v11, v10
	s_delay_alu instid0(VALU_DEP_1) | instskip(NEXT) | instid1(VALU_DEP_1)
	v_sub_nc_u32_e32 v10, v6, v8
	v_subrev_co_ci_u32_e64 v10, s2, s21, v10, vcc_lo
	v_add_co_u32 v11, s2, v2, 2
	s_delay_alu instid0(VALU_DEP_1) | instskip(SKIP_3) | instid1(VALU_DEP_3)
	v_add_co_ci_u32_e64 v12, s2, 0, v9, s2
	v_sub_co_u32 v13, s2, v7, s20
	v_sub_co_ci_u32_e32 v8, vcc_lo, v6, v8, vcc_lo
	v_subrev_co_ci_u32_e64 v10, s2, 0, v10, s2
	v_cmp_le_u32_e32 vcc_lo, s20, v13
	s_delay_alu instid0(VALU_DEP_3) | instskip(SKIP_1) | instid1(VALU_DEP_4)
	v_cmp_eq_u32_e64 s2, s21, v8
	v_cndmask_b32_e64 v13, 0, -1, vcc_lo
	v_cmp_le_u32_e32 vcc_lo, s21, v10
	v_cndmask_b32_e64 v14, 0, -1, vcc_lo
	v_cmp_le_u32_e32 vcc_lo, s20, v7
	;; [unrolled: 2-line block ×3, first 2 shown]
	v_cndmask_b32_e64 v15, 0, -1, vcc_lo
	v_cmp_eq_u32_e32 vcc_lo, s21, v10
	s_delay_alu instid0(VALU_DEP_2) | instskip(SKIP_3) | instid1(VALU_DEP_3)
	v_cndmask_b32_e64 v7, v15, v7, s2
	v_cndmask_b32_e32 v10, v14, v13, vcc_lo
	v_add_co_u32 v13, vcc_lo, v2, 1
	v_add_co_ci_u32_e32 v14, vcc_lo, 0, v9, vcc_lo
	v_cmp_ne_u32_e32 vcc_lo, 0, v10
	s_delay_alu instid0(VALU_DEP_2) | instskip(NEXT) | instid1(VALU_DEP_4)
	v_cndmask_b32_e32 v8, v14, v12, vcc_lo
	v_cndmask_b32_e32 v10, v13, v11, vcc_lo
	v_cmp_ne_u32_e32 vcc_lo, 0, v7
	s_delay_alu instid0(VALU_DEP_2)
	v_dual_cndmask_b32 v7, v2, v10 :: v_dual_cndmask_b32 v8, v9, v8
.LBB0_4:                                ;   in Loop: Header=BB0_2 Depth=1
	s_and_not1_saveexec_b32 s2, s3
	s_cbranch_execz .LBB0_6
; %bb.5:                                ;   in Loop: Header=BB0_2 Depth=1
	v_cvt_f32_u32_e32 v2, s20
	s_sub_i32 s3, 0, s20
	s_delay_alu instid0(VALU_DEP_1) | instskip(SKIP_2) | instid1(VALU_DEP_1)
	v_rcp_iflag_f32_e32 v2, v2
	s_waitcnt_depctr 0xfff
	v_mul_f32_e32 v2, 0x4f7ffffe, v2
	v_cvt_u32_f32_e32 v2, v2
	s_delay_alu instid0(VALU_DEP_1) | instskip(NEXT) | instid1(VALU_DEP_1)
	v_mul_lo_u32 v7, s3, v2
	v_mul_hi_u32 v7, v2, v7
	s_delay_alu instid0(VALU_DEP_1) | instskip(NEXT) | instid1(VALU_DEP_1)
	v_add_nc_u32_e32 v2, v2, v7
	v_mul_hi_u32 v2, v5, v2
	s_delay_alu instid0(VALU_DEP_1) | instskip(SKIP_1) | instid1(VALU_DEP_2)
	v_mul_lo_u32 v7, v2, s20
	v_add_nc_u32_e32 v8, 1, v2
	v_sub_nc_u32_e32 v7, v5, v7
	s_delay_alu instid0(VALU_DEP_1) | instskip(SKIP_1) | instid1(VALU_DEP_2)
	v_subrev_nc_u32_e32 v9, s20, v7
	v_cmp_le_u32_e32 vcc_lo, s20, v7
	v_dual_cndmask_b32 v7, v7, v9 :: v_dual_cndmask_b32 v2, v2, v8
	s_delay_alu instid0(VALU_DEP_1) | instskip(NEXT) | instid1(VALU_DEP_2)
	v_cmp_le_u32_e32 vcc_lo, s20, v7
	v_add_nc_u32_e32 v8, 1, v2
	s_delay_alu instid0(VALU_DEP_1)
	v_dual_cndmask_b32 v7, v2, v8 :: v_dual_mov_b32 v8, v1
.LBB0_6:                                ;   in Loop: Header=BB0_2 Depth=1
	s_or_b32 exec_lo, exec_lo, s2
	s_load_b64 s[2:3], s[14:15], 0x0
	s_delay_alu instid0(VALU_DEP_1) | instskip(NEXT) | instid1(VALU_DEP_2)
	v_mul_lo_u32 v2, v8, s20
	v_mul_lo_u32 v11, v7, s21
	v_mad_u64_u32 v[9:10], null, v7, s20, 0
	s_add_u32 s18, s18, 1
	s_addc_u32 s19, s19, 0
	s_add_u32 s14, s14, 8
	s_addc_u32 s15, s15, 0
	;; [unrolled: 2-line block ×3, first 2 shown]
	s_delay_alu instid0(VALU_DEP_1) | instskip(SKIP_1) | instid1(VALU_DEP_2)
	v_add3_u32 v2, v10, v11, v2
	v_sub_co_u32 v9, vcc_lo, v5, v9
	v_sub_co_ci_u32_e32 v2, vcc_lo, v6, v2, vcc_lo
	s_waitcnt lgkmcnt(0)
	s_delay_alu instid0(VALU_DEP_2) | instskip(NEXT) | instid1(VALU_DEP_2)
	v_mul_lo_u32 v10, s3, v9
	v_mul_lo_u32 v2, s2, v2
	v_mad_u64_u32 v[5:6], null, s2, v9, v[3:4]
	v_cmp_ge_u64_e64 s2, s[18:19], s[6:7]
	s_delay_alu instid0(VALU_DEP_1) | instskip(NEXT) | instid1(VALU_DEP_2)
	s_and_b32 vcc_lo, exec_lo, s2
	v_add3_u32 v4, v10, v6, v2
	s_delay_alu instid0(VALU_DEP_3)
	v_mov_b32_e32 v3, v5
	s_cbranch_vccnz .LBB0_8
; %bb.7:                                ;   in Loop: Header=BB0_2 Depth=1
	v_dual_mov_b32 v5, v7 :: v_dual_mov_b32 v6, v8
	s_branch .LBB0_2
.LBB0_8:
	s_lshl_b64 s[2:3], s[6:7], 3
                                        ; implicit-def: $vgpr50_vgpr51
                                        ; implicit-def: $vgpr46_vgpr47
                                        ; implicit-def: $vgpr54_vgpr55
                                        ; implicit-def: $vgpr58_vgpr59
                                        ; implicit-def: $vgpr66_vgpr67
                                        ; implicit-def: $vgpr74_vgpr75
                                        ; implicit-def: $vgpr62_vgpr63
                                        ; implicit-def: $vgpr70_vgpr71
                                        ; implicit-def: $vgpr82_vgpr83
                                        ; implicit-def: $vgpr86_vgpr87
                                        ; implicit-def: $vgpr90_vgpr91
                                        ; implicit-def: $vgpr94_vgpr95
                                        ; implicit-def: $vgpr102_vgpr103
                                        ; implicit-def: $vgpr98_vgpr99
                                        ; implicit-def: $vgpr106_vgpr107
                                        ; implicit-def: $vgpr110_vgpr111
                                        ; implicit-def: $vgpr122_vgpr123
                                        ; implicit-def: $vgpr118_vgpr119
                                        ; implicit-def: $vgpr126_vgpr127
                                        ; implicit-def: $vgpr130_vgpr131
                                        ; implicit-def: $vgpr134_vgpr135
                                        ; implicit-def: $vgpr114_vgpr115
                                        ; implicit-def: $vgpr78_vgpr79
	s_delay_alu instid0(SALU_CYCLE_1)
	s_add_u32 s2, s12, s2
	s_addc_u32 s3, s13, s3
	s_load_b64 s[2:3], s[2:3], 0x0
	s_load_b64 s[0:1], s[0:1], 0x20
	s_waitcnt lgkmcnt(0)
	v_mul_lo_u32 v5, s2, v8
	v_mul_lo_u32 v6, s3, v7
	v_mad_u64_u32 v[1:2], null, s2, v7, v[3:4]
	v_mul_hi_u32 v3, 0xf0f0f10, v0
	v_cmp_gt_u64_e32 vcc_lo, s[0:1], v[7:8]
	s_delay_alu instid0(VALU_DEP_3) | instskip(NEXT) | instid1(VALU_DEP_3)
	v_add3_u32 v2, v6, v2, v5
	v_mul_u32_u24_e32 v3, 17, v3
	s_delay_alu instid0(VALU_DEP_2) | instskip(NEXT) | instid1(VALU_DEP_2)
	v_lshlrev_b64 v[1:2], 4, v[1:2]
	v_sub_nc_u32_e32 v162, v0, v3
	s_clause 0xa
	scratch_store_b64 off, v[1:2], off offset:160
	; meta instruction
	scratch_store_b128 off, v[0:3], off
	; meta instruction
	scratch_store_b128 off, v[0:3], off offset:16
	; meta instruction
	scratch_store_b128 off, v[0:3], off offset:32
	;; [unrolled: 2-line block ×9, first 2 shown]
                                        ; implicit-def: $vgpr2_vgpr3
	s_and_saveexec_b32 s1, vcc_lo
	s_cbranch_execz .LBB0_12
; %bb.9:
	v_add_nc_u32_e32 v13, 50, v162
	v_mad_u64_u32 v[0:1], null, s8, v162, 0
	v_add_nc_u32_e32 v17, 0x64, v162
	v_add_nc_u32_e32 v22, 0x190, v162
	s_delay_alu instid0(VALU_DEP_4) | instskip(SKIP_3) | instid1(VALU_DEP_3)
	v_mad_u64_u32 v[8:9], null, s8, v13, 0
	v_add_nc_u32_e32 v7, 25, v162
                                        ; implicit-def: $vgpr72_vgpr73
                                        ; implicit-def: $vgpr64_vgpr65
                                        ; implicit-def: $vgpr56_vgpr57
                                        ; implicit-def: $vgpr52_vgpr53
                                        ; implicit-def: $vgpr44_vgpr45
                                        ; implicit-def: $vgpr48_vgpr49
	v_add_nc_u32_e32 v20, 0x96, v162
	v_add_nc_u32_e32 v21, 0x177, v162
	v_mad_u64_u32 v[2:3], null, s8, v7, 0
	v_add_nc_u32_e32 v16, 0x4b, v162
	s_delay_alu instid0(VALU_DEP_2) | instskip(NEXT) | instid1(VALU_DEP_3)
	v_mad_u64_u32 v[4:5], null, s9, v162, v[1:2]
	v_mov_b32_e32 v1, v3
	s_delay_alu instid0(VALU_DEP_3) | instskip(NEXT) | instid1(VALU_DEP_2)
	v_mad_u64_u32 v[10:11], null, s8, v16, 0
	v_mad_u64_u32 v[5:6], null, s9, v7, v[1:2]
	s_delay_alu instid0(VALU_DEP_4)
	v_mov_b32_e32 v1, v4
	scratch_load_b64 v[3:4], off, off offset:160 ; 8-byte Folded Reload
	v_lshlrev_b64 v[0:1], 4, v[0:1]
	s_waitcnt vmcnt(0)
	v_add_co_u32 v6, s0, s10, v3
	v_mov_b32_e32 v3, v5
	v_add_co_ci_u32_e64 v7, s0, s11, v4, s0
	v_dual_mov_b32 v4, v9 :: v_dual_mov_b32 v5, v11
	s_delay_alu instid0(VALU_DEP_3) | instskip(SKIP_1) | instid1(VALU_DEP_1)
	v_lshlrev_b64 v[2:3], 4, v[2:3]
	v_add_co_u32 v0, s0, v6, v0
	v_add_co_ci_u32_e64 v1, s0, v7, v1, s0
	s_delay_alu instid0(VALU_DEP_4) | instskip(NEXT) | instid1(VALU_DEP_4)
	v_mad_u64_u32 v[11:12], null, s9, v13, v[4:5]
	v_add_co_u32 v2, s0, v6, v2
	v_mad_u64_u32 v[14:15], null, s9, v16, v[5:6]
	v_mad_u64_u32 v[12:13], null, s8, v17, 0
	v_add_nc_u32_e32 v15, 0x7d, v162
	v_add_co_ci_u32_e64 v3, s0, v7, v3, s0
	s_clause 0x1
	global_load_b128 v[76:79], v[0:1], off
	global_load_b128 v[112:115], v[2:3], off
	v_mad_u64_u32 v[3:4], null, s8, v15, 0
	v_dual_mov_b32 v9, v11 :: v_dual_mov_b32 v2, v13
	v_mov_b32_e32 v11, v14
	s_delay_alu instid0(VALU_DEP_2) | instskip(NEXT) | instid1(VALU_DEP_3)
	v_lshlrev_b64 v[0:1], 4, v[8:9]
	v_mad_u64_u32 v[8:9], null, s9, v17, v[2:3]
	v_mov_b32_e32 v2, v4
	s_delay_alu instid0(VALU_DEP_4) | instskip(NEXT) | instid1(VALU_DEP_4)
	v_lshlrev_b64 v[4:5], 4, v[10:11]
	v_add_co_u32 v0, s0, v6, v0
	s_delay_alu instid0(VALU_DEP_1) | instskip(SKIP_4) | instid1(VALU_DEP_1)
	v_add_co_ci_u32_e64 v1, s0, v7, v1, s0
	v_mov_b32_e32 v13, v8
	v_mad_u64_u32 v[8:9], null, s9, v15, v[2:3]
	v_mad_u64_u32 v[9:10], null, s8, v20, 0
	v_add_co_u32 v14, s0, v6, v4
	v_add_co_ci_u32_e64 v15, s0, v7, v5, s0
	s_delay_alu instid0(VALU_DEP_4) | instskip(SKIP_2) | instid1(VALU_DEP_3)
	v_dual_mov_b32 v4, v8 :: v_dual_add_nc_u32 v5, 0xaf, v162
	v_lshlrev_b64 v[11:12], 4, v[12:13]
	v_dual_mov_b32 v2, v10 :: v_dual_add_nc_u32 v13, 0xc8, v162
	v_lshlrev_b64 v[3:4], 4, v[3:4]
	s_delay_alu instid0(VALU_DEP_4) | instskip(NEXT) | instid1(VALU_DEP_4)
	v_mad_u64_u32 v[16:17], null, s8, v5, 0
	v_add_co_u32 v11, s0, v6, v11
	s_delay_alu instid0(VALU_DEP_1) | instskip(NEXT) | instid1(VALU_DEP_4)
	v_add_co_ci_u32_e64 v12, s0, v7, v12, s0
	v_mad_u64_u32 v[18:19], null, s9, v20, v[2:3]
	s_delay_alu instid0(VALU_DEP_4) | instskip(SKIP_1) | instid1(VALU_DEP_1)
	v_mov_b32_e32 v2, v17
	v_add_co_u32 v3, s0, v6, v3
	v_add_co_ci_u32_e64 v4, s0, v7, v4, s0
	s_clause 0x3
	global_load_b128 v[132:135], v[0:1], off
	global_load_b128 v[128:131], v[14:15], off
	;; [unrolled: 1-line block ×4, first 2 shown]
	v_mov_b32_e32 v10, v18
	v_mad_u64_u32 v[17:18], null, s9, v5, v[2:3]
	v_mad_u64_u32 v[18:19], null, s8, v13, 0
	v_add_nc_u32_e32 v14, 0xe1, v162
	s_delay_alu instid0(VALU_DEP_4) | instskip(SKIP_2) | instid1(VALU_DEP_4)
	v_lshlrev_b64 v[0:1], 4, v[9:10]
	v_add_nc_u32_e32 v20, 0x15e, v162
	v_lshlrev_b64 v[8:9], 4, v[16:17]
	v_mad_u64_u32 v[3:4], null, s8, v14, 0
	v_mov_b32_e32 v2, v19
	v_add_co_u32 v0, s0, v6, v0
	s_delay_alu instid0(VALU_DEP_1) | instskip(NEXT) | instid1(VALU_DEP_3)
	v_add_co_ci_u32_e64 v1, s0, v7, v1, s0
	v_mad_u64_u32 v[10:11], null, s9, v13, v[2:3]
	v_mov_b32_e32 v2, v4
	v_add_co_u32 v4, s0, v6, v8
	s_delay_alu instid0(VALU_DEP_1) | instskip(NEXT) | instid1(VALU_DEP_3)
	v_add_co_ci_u32_e64 v5, s0, v7, v9, s0
	v_mad_u64_u32 v[8:9], null, s9, v14, v[2:3]
	v_add_nc_u32_e32 v15, 0xfa, v162
	s_clause 0x1
	global_load_b128 v[120:123], v[0:1], off
	global_load_b128 v[108:111], v[4:5], off
	v_dual_mov_b32 v19, v10 :: v_dual_add_nc_u32 v16, 0x113, v162
	v_mov_b32_e32 v4, v8
	v_mad_u64_u32 v[11:12], null, s8, v15, 0
	s_delay_alu instid0(VALU_DEP_3) | instskip(NEXT) | instid1(VALU_DEP_4)
	v_mad_u64_u32 v[9:10], null, s8, v16, 0
	v_lshlrev_b64 v[0:1], 4, v[18:19]
	s_delay_alu instid0(VALU_DEP_3) | instskip(NEXT) | instid1(VALU_DEP_2)
	v_dual_mov_b32 v2, v12 :: v_dual_add_nc_u32 v19, 0x145, v162
	v_add_co_u32 v0, s0, v6, v0
	s_delay_alu instid0(VALU_DEP_1) | instskip(NEXT) | instid1(VALU_DEP_3)
	v_add_co_ci_u32_e64 v1, s0, v7, v1, s0
	v_mad_u64_u32 v[12:13], null, s9, v15, v[2:3]
	v_lshlrev_b64 v[3:4], 4, v[3:4]
	v_mov_b32_e32 v2, v10
	s_delay_alu instid0(VALU_DEP_1) | instskip(SKIP_2) | instid1(VALU_DEP_1)
	v_mad_u64_u32 v[13:14], null, s9, v16, v[2:3]
	v_add_nc_u32_e32 v14, 0x12c, v162
	v_add_co_u32 v2, s0, v6, v3
	v_add_co_ci_u32_e64 v3, s0, v7, v4, s0
	v_lshlrev_b64 v[4:5], 4, v[11:12]
	s_delay_alu instid0(VALU_DEP_4)
	v_mad_u64_u32 v[11:12], null, s8, v14, 0
	v_mov_b32_e32 v10, v13
	s_clause 0x1
	global_load_b128 v[104:107], v[0:1], off
	global_load_b128 v[96:99], v[2:3], off
	v_mad_u64_u32 v[15:16], null, s8, v21, 0
	v_add_co_u32 v0, s0, v6, v4
	v_lshlrev_b64 v[3:4], 4, v[9:10]
	v_mov_b32_e32 v2, v12
	v_add_co_ci_u32_e64 v1, s0, v7, v5, s0
	s_delay_alu instid0(VALU_DEP_2) | instskip(SKIP_3) | instid1(VALU_DEP_1)
	v_mad_u64_u32 v[8:9], null, s9, v14, v[2:3]
	v_mad_u64_u32 v[9:10], null, s8, v19, 0
	;; [unrolled: 1-line block ×3, first 2 shown]
	v_add_co_u32 v2, s0, v6, v3
	v_add_co_ci_u32_e64 v3, s0, v7, v4, s0
	s_delay_alu instid0(VALU_DEP_4) | instskip(NEXT) | instid1(VALU_DEP_4)
	v_mov_b32_e32 v4, v10
	v_dual_mov_b32 v12, v8 :: v_dual_mov_b32 v5, v14
	s_clause 0x1
	global_load_b128 v[100:103], v[0:1], off
	global_load_b128 v[92:95], v[2:3], off
	v_mov_b32_e32 v0, v16
	v_lshlrev_b64 v[1:2], 4, v[11:12]
	v_mad_u64_u32 v[17:18], null, s9, v19, v[4:5]
	v_mad_u64_u32 v[18:19], null, s9, v20, v[5:6]
	;; [unrolled: 1-line block ×3, first 2 shown]
	s_delay_alu instid0(VALU_DEP_4)
	v_mad_u64_u32 v[11:12], null, s9, v21, v[0:1]
	v_add_co_u32 v1, s0, v6, v1
	v_mov_b32_e32 v10, v17
	v_mov_b32_e32 v14, v18
	;; [unrolled: 1-line block ×3, first 2 shown]
	v_add_co_ci_u32_e64 v2, s0, v7, v2, s0
	s_delay_alu instid0(VALU_DEP_4) | instskip(SKIP_1) | instid1(VALU_DEP_4)
	v_lshlrev_b64 v[8:9], 4, v[9:10]
	v_mov_b32_e32 v16, v11
	v_mad_u64_u32 v[17:18], null, s9, v22, v[0:1]
	v_lshlrev_b64 v[12:13], 4, v[13:14]
	s_delay_alu instid0(VALU_DEP_4) | instskip(NEXT) | instid1(VALU_DEP_4)
	v_add_co_u32 v8, s0, v6, v8
	v_lshlrev_b64 v[10:11], 4, v[15:16]
	v_add_co_ci_u32_e64 v9, s0, v7, v9, s0
	v_mov_b32_e32 v5, v17
	v_add_co_u32 v12, s0, v6, v12
	s_delay_alu instid0(VALU_DEP_1) | instskip(NEXT) | instid1(VALU_DEP_3)
	v_add_co_ci_u32_e64 v13, s0, v7, v13, s0
	v_lshlrev_b64 v[3:4], 4, v[4:5]
	v_add_co_u32 v10, s0, v6, v10
	s_delay_alu instid0(VALU_DEP_1) | instskip(NEXT) | instid1(VALU_DEP_3)
	v_add_co_ci_u32_e64 v11, s0, v7, v11, s0
	v_add_co_u32 v3, s0, v6, v3
	s_delay_alu instid0(VALU_DEP_1)
	v_add_co_ci_u32_e64 v4, s0, v7, v4, s0
	s_clause 0x4
	global_load_b128 v[88:91], v[1:2], off
	global_load_b128 v[84:87], v[8:9], off
	;; [unrolled: 1-line block ×5, first 2 shown]
	v_cmp_gt_u32_e64 s0, 8, v162
                                        ; implicit-def: $vgpr2_vgpr3
                                        ; implicit-def: $vgpr0_vgpr1
	s_clause 0x9
	scratch_store_b128 off, v[2:5], off offset:128
	; meta instruction
	scratch_store_b128 off, v[2:5], off offset:112
	; meta instruction
	;; [unrolled: 2-line block ×9, first 2 shown]
	scratch_store_b128 off, v[2:5], off
	s_and_saveexec_b32 s2, s0
	s_cbranch_execz .LBB0_11
; %bb.10:
	v_add_nc_u32_e32 v10, 17, v162
	v_add_nc_u32_e32 v11, 42, v162
	v_add_nc_u32_e32 v14, 0x43, v162
	v_add_nc_u32_e32 v17, 0x75, v162
	v_add_nc_u32_e32 v21, 0xa7, v162
	v_mad_u64_u32 v[0:1], null, s8, v10, 0
	v_mad_u64_u32 v[2:3], null, s8, v11, 0
	;; [unrolled: 1-line block ×3, first 2 shown]
	v_or_b32_e32 v22, 0xc0, v162
	s_delay_alu instid0(VALU_DEP_3) | instskip(NEXT) | instid1(VALU_DEP_3)
	v_mad_u64_u32 v[8:9], null, s9, v10, v[1:2]
	v_mad_u64_u32 v[9:10], null, s9, v11, v[3:4]
	s_delay_alu instid0(VALU_DEP_2) | instskip(NEXT) | instid1(VALU_DEP_2)
	v_mov_b32_e32 v1, v8
	v_mov_b32_e32 v3, v9
	v_mad_u64_u32 v[12:13], null, s9, v14, v[5:6]
	s_delay_alu instid0(VALU_DEP_3) | instskip(SKIP_1) | instid1(VALU_DEP_4)
	v_lshlrev_b64 v[0:1], 4, v[0:1]
	v_add_nc_u32_e32 v16, 0x5c, v162
	v_lshlrev_b64 v[2:3], 4, v[2:3]
	v_mad_u64_u32 v[8:9], null, s8, v17, 0
	v_mov_b32_e32 v5, v12
	s_delay_alu instid0(VALU_DEP_4) | instskip(SKIP_1) | instid1(VALU_DEP_1)
	v_mad_u64_u32 v[10:11], null, s8, v16, 0
	v_add_co_u32 v0, s0, v6, v0
	v_add_co_ci_u32_e64 v1, s0, v7, v1, s0
	v_add_co_u32 v12, s0, v6, v2
	s_delay_alu instid0(VALU_DEP_1)
	v_add_co_ci_u32_e64 v13, s0, v7, v3, s0
	s_clause 0x1
	global_load_b128 v[0:3], v[0:1], off
	global_load_b128 v[72:75], v[12:13], off
	v_mad_u64_u32 v[14:15], null, s9, v16, v[11:12]
	v_add_nc_u32_e32 v16, 0x8e, v162
	v_lshlrev_b64 v[4:5], 4, v[4:5]
	s_delay_alu instid0(VALU_DEP_3) | instskip(NEXT) | instid1(VALU_DEP_3)
	v_mov_b32_e32 v11, v14
	v_mad_u64_u32 v[12:13], null, s8, v16, 0
	v_mad_u64_u32 v[14:15], null, s9, v17, v[9:10]
	;; [unrolled: 1-line block ×3, first 2 shown]
	s_delay_alu instid0(VALU_DEP_4) | instskip(SKIP_1) | instid1(VALU_DEP_1)
	v_lshlrev_b64 v[10:11], 4, v[10:11]
	v_add_co_u32 v4, s0, v6, v4
	v_add_co_ci_u32_e64 v5, s0, v7, v5, s0
	v_mov_b32_e32 v9, v14
	v_mad_u64_u32 v[14:15], null, s9, v16, v[13:14]
	v_mad_u64_u32 v[15:16], null, s8, v21, 0
	v_add_co_u32 v10, s0, v6, v10
	s_delay_alu instid0(VALU_DEP_1) | instskip(NEXT) | instid1(VALU_DEP_3)
	v_add_co_ci_u32_e64 v11, s0, v7, v11, s0
	v_dual_mov_b32 v13, v14 :: v_dual_mov_b32 v14, v16
	s_delay_alu instid0(VALU_DEP_1) | instskip(NEXT) | instid1(VALU_DEP_2)
	v_lshlrev_b64 v[12:13], 4, v[12:13]
	v_mad_u64_u32 v[19:20], null, s9, v21, v[14:15]
	v_mov_b32_e32 v14, v18
	s_delay_alu instid0(VALU_DEP_2) | instskip(NEXT) | instid1(VALU_DEP_2)
	v_mov_b32_e32 v16, v19
	v_mad_u64_u32 v[18:19], null, s9, v22, v[14:15]
	v_add_nc_u32_e32 v22, 0xf2, v162
	v_lshlrev_b64 v[8:9], 4, v[8:9]
	s_delay_alu instid0(VALU_DEP_1) | instskip(NEXT) | instid1(VALU_DEP_1)
	v_add_co_u32 v8, s0, v6, v8
	v_add_co_ci_u32_e64 v9, s0, v7, v9, s0
	v_add_co_u32 v12, s0, v6, v12
	s_delay_alu instid0(VALU_DEP_1)
	v_add_co_ci_u32_e64 v13, s0, v7, v13, s0
	s_clause 0x3
	global_load_b128 v[64:67], v[4:5], off
	global_load_b128 v[56:59], v[10:11], off
	;; [unrolled: 1-line block ×4, first 2 shown]
	v_mad_u64_u32 v[9:10], null, s8, v22, 0
	v_add_nc_u32_e32 v21, 0xd9, v162
	v_lshlrev_b64 v[4:5], 4, v[15:16]
	v_lshlrev_b64 v[11:12], 4, v[17:18]
	s_delay_alu instid0(VALU_DEP_3) | instskip(NEXT) | instid1(VALU_DEP_3)
	v_mad_u64_u32 v[19:20], null, s8, v21, 0
	v_add_co_u32 v4, s0, v6, v4
	s_delay_alu instid0(VALU_DEP_1) | instskip(NEXT) | instid1(VALU_DEP_3)
	v_add_co_ci_u32_e64 v5, s0, v7, v5, s0
	v_mov_b32_e32 v8, v20
	s_delay_alu instid0(VALU_DEP_1) | instskip(SKIP_2) | instid1(VALU_DEP_1)
	v_mad_u64_u32 v[13:14], null, s9, v21, v[8:9]
	v_dual_mov_b32 v8, v10 :: v_dual_add_nc_u32 v23, 0x10b, v162
	v_add_co_u32 v10, s0, v6, v11
	v_add_co_ci_u32_e64 v11, s0, v7, v12, s0
	s_delay_alu instid0(VALU_DEP_4) | instskip(NEXT) | instid1(VALU_DEP_4)
	v_mov_b32_e32 v20, v13
	v_mad_u64_u32 v[14:15], null, s8, v23, 0
	v_add_nc_u32_e32 v21, 0x124, v162
	v_mad_u64_u32 v[12:13], null, s9, v22, v[8:9]
	s_clause 0x1
	global_load_b128 v[48:51], v[4:5], off
	global_load_b128 v[24:27], v[10:11], off
	v_lshlrev_b64 v[4:5], 4, v[19:20]
	v_mov_b32_e32 v8, v15
	v_mad_u64_u32 v[16:17], null, s8, v21, 0
	s_delay_alu instid0(VALU_DEP_3) | instskip(NEXT) | instid1(VALU_DEP_3)
	v_add_co_u32 v4, s0, v6, v4
	v_mad_u64_u32 v[18:19], null, s9, v23, v[8:9]
	v_mov_b32_e32 v10, v12
	s_delay_alu instid0(VALU_DEP_4)
	v_mov_b32_e32 v8, v17
	v_add_co_ci_u32_e64 v5, s0, v7, v5, s0
	v_add_nc_u32_e32 v23, 0x1a1, v162
	v_mov_b32_e32 v15, v18
	v_lshlrev_b64 v[9:10], 4, v[9:10]
	v_add_nc_u32_e32 v18, 0x13d, v162
	s_delay_alu instid0(VALU_DEP_2) | instskip(SKIP_2) | instid1(VALU_DEP_1)
	v_mad_u64_u32 v[11:12], null, s9, v21, v[8:9]
	global_load_b128 v[19:22], v[4:5], off
	v_add_co_u32 v8, s0, v6, v9
	v_add_co_ci_u32_e64 v9, s0, v7, v10, s0
	v_lshlrev_b64 v[12:13], 4, v[14:15]
	v_mad_u64_u32 v[14:15], null, s8, v18, 0
	v_mov_b32_e32 v17, v11
	s_delay_alu instid0(VALU_DEP_3) | instskip(NEXT) | instid1(VALU_DEP_1)
	v_add_co_u32 v4, s0, v6, v12
	v_add_co_ci_u32_e64 v5, s0, v7, v13, s0
	s_waitcnt vmcnt(0)
	scratch_store_b128 off, v[19:22], off offset:112 ; 16-byte Folded Spill
	global_load_b128 v[19:22], v[8:9], off
	v_lshlrev_b64 v[9:10], 4, v[16:17]
	scratch_store_b128 off, v[24:27], off offset:128 ; 16-byte Folded Spill
	v_mov_b32_e32 v8, v15
	s_waitcnt vmcnt(0)
	scratch_store_b128 off, v[19:22], off offset:64 ; 16-byte Folded Spill
	v_add_nc_u32_e32 v21, 0x16f, v162
	v_mad_u64_u32 v[11:12], null, s9, v18, v[8:9]
	v_add_co_u32 v8, s0, v6, v9
	s_delay_alu instid0(VALU_DEP_3)
	v_mad_u64_u32 v[16:17], null, s8, v21, 0
	v_add_nc_u32_e32 v20, 0x156, v162
	v_add_co_ci_u32_e64 v9, s0, v7, v10, s0
	v_mov_b32_e32 v15, v11
	v_or_b32_e32 v22, 0x188, v162
	v_mov_b32_e32 v11, v17
	v_mad_u64_u32 v[12:13], null, s8, v20, 0
	s_delay_alu instid0(VALU_DEP_3) | instskip(NEXT) | instid1(VALU_DEP_2)
	v_mad_u64_u32 v[18:19], null, s8, v22, 0
	v_mov_b32_e32 v10, v13
	s_delay_alu instid0(VALU_DEP_1) | instskip(NEXT) | instid1(VALU_DEP_4)
	v_mad_u64_u32 v[24:25], null, s9, v20, v[10:11]
	v_mad_u64_u32 v[25:26], null, s9, v21, v[11:12]
	global_load_b128 v[26:29], v[4:5], off
	v_mad_u64_u32 v[10:11], null, s8, v23, 0
	v_dual_mov_b32 v4, v19 :: v_dual_mov_b32 v13, v24
	v_mov_b32_e32 v17, v25
	s_waitcnt vmcnt(0)
	scratch_store_b128 off, v[26:29], off offset:144 ; 16-byte Folded Spill
	global_load_b128 v[26:29], v[8:9], off
	v_lshlrev_b64 v[8:9], 4, v[14:15]
	v_mad_u64_u32 v[14:15], null, s9, v22, v[4:5]
	v_mov_b32_e32 v4, v11
	v_lshlrev_b64 v[11:12], 4, v[12:13]
	s_delay_alu instid0(VALU_DEP_4) | instskip(NEXT) | instid1(VALU_DEP_3)
	v_add_co_u32 v8, s0, v6, v8
	v_mad_u64_u32 v[24:25], null, s9, v23, v[4:5]
	v_mov_b32_e32 v19, v14
	v_add_co_ci_u32_e64 v9, s0, v7, v9, s0
	v_lshlrev_b64 v[4:5], 4, v[16:17]
	v_add_co_u32 v13, s0, v6, v11
	v_mov_b32_e32 v11, v24
	v_lshlrev_b64 v[15:16], 4, v[18:19]
	v_add_co_ci_u32_e64 v14, s0, v7, v12, s0
	v_add_co_u32 v4, s0, v6, v4
	s_delay_alu instid0(VALU_DEP_4) | instskip(SKIP_2) | instid1(VALU_DEP_1)
	v_lshlrev_b64 v[10:11], 4, v[10:11]
	v_add_co_ci_u32_e64 v5, s0, v7, v5, s0
	v_add_co_u32 v137, s0, v6, v15
	v_add_co_ci_u32_e64 v138, s0, v7, v16, s0
	s_delay_alu instid0(VALU_DEP_4) | instskip(NEXT) | instid1(VALU_DEP_1)
	v_add_co_u32 v6, s0, v6, v10
	v_add_co_ci_u32_e64 v7, s0, v7, v11, s0
	global_load_b128 v[8:11], v[8:9], off
	s_waitcnt vmcnt(0)
	scratch_store_b128 off, v[8:11], off offset:80 ; 16-byte Folded Spill
	global_load_b128 v[8:11], v[13:14], off
	s_waitcnt vmcnt(0)
	scratch_store_b128 off, v[8:11], off offset:48 ; 16-byte Folded Spill
	global_load_b128 v[8:11], v[4:5], off
	scratch_store_b128 off, v[26:29], off offset:96 ; 16-byte Folded Spill
	global_load_b128 v[4:7], v[6:7], off
	s_waitcnt vmcnt(1)
	scratch_store_b128 off, v[8:11], off offset:32 ; 16-byte Folded Spill
	global_load_b128 v[8:11], v[137:138], off
	s_waitcnt vmcnt(1)
	scratch_store_b128 off, v[4:7], off     ; 16-byte Folded Spill
	s_waitcnt vmcnt(0)
	scratch_store_b128 off, v[8:11], off offset:16 ; 16-byte Folded Spill
.LBB0_11:
	s_or_b32 exec_lo, exec_lo, s2
.LBB0_12:
	s_delay_alu instid0(SALU_CYCLE_1)
	s_or_b32 exec_lo, exec_lo, s1
	s_waitcnt vmcnt(15)
	v_add_f64 v[137:138], v[112:113], v[76:77]
	s_waitcnt vmcnt(0)
	v_add_f64 v[139:140], v[114:115], -v[62:63]
	s_mov_b32 s42, 0x5d8e7cdc
	s_mov_b32 s48, 0x2a9d6da3
	;; [unrolled: 1-line block ×14, first 2 shown]
	v_add_f64 v[141:142], v[134:135], -v[70:71]
	v_add_f64 v[143:144], v[60:61], v[112:113]
	s_mov_b32 s53, 0xbfeca52d
	s_mov_b32 s41, 0xbfc7851a
	;; [unrolled: 1-line block ×20, first 2 shown]
	v_add_f64 v[137:138], v[132:133], v[137:138]
	v_mul_f64 v[175:176], v[139:140], s[42:43]
	v_mul_f64 v[177:178], v[139:140], s[48:49]
	;; [unrolled: 1-line block ×8, first 2 shown]
	s_mov_b32 s19, 0xbfe348c8
	s_mov_b32 s21, 0xbfeb34fa
	;; [unrolled: 1-line block ×3, first 2 shown]
	v_add_f64 v[145:146], v[68:69], v[132:133]
	v_add_f64 v[147:148], v[130:131], -v[82:83]
	s_mov_b32 s23, 0xbfef7484
	s_mov_b32 s6, 0x2b2883cd
	v_mul_f64 v[189:190], v[141:142], s[48:49]
	v_mul_f64 v[191:192], v[141:142], s[44:45]
	;; [unrolled: 1-line block ×8, first 2 shown]
	s_mov_b32 s7, 0x3fdc86fa
	s_mov_b32 s35, 0x3fe58eea
	;; [unrolled: 1-line block ×5, first 2 shown]
	v_add_f64 v[149:150], v[80:81], v[128:129]
	v_add_f64 v[151:152], v[126:127], -v[86:87]
	s_mov_b32 s47, 0x3fe9895b
	s_mov_b32 s46, s30
	v_add_f64 v[153:154], v[84:85], v[124:125]
	v_add_f64 v[158:159], v[118:119], -v[90:91]
	s_mov_b32 s27, 0x3fefdd0d
	s_mov_b32 s26, s44
	v_add_f64 v[160:161], v[88:89], v[116:117]
	v_add_f64 v[137:138], v[128:129], v[137:138]
	v_fma_f64 v[235:236], v[143:144], s[14:15], v[175:176]
	v_fma_f64 v[175:176], v[143:144], s[14:15], -v[175:176]
	v_fma_f64 v[237:238], v[143:144], s[12:13], v[177:178]
	v_fma_f64 v[239:240], v[143:144], s[2:3], v[179:180]
	v_fma_f64 v[179:180], v[143:144], s[2:3], -v[179:180]
	v_fma_f64 v[241:242], v[143:144], s[16:17], v[181:182]
	v_fma_f64 v[177:178], v[143:144], s[12:13], -v[177:178]
	v_fma_f64 v[243:244], v[143:144], s[18:19], v[183:184]
	v_fma_f64 v[245:246], v[143:144], s[20:21], v[187:188]
	v_fma_f64 v[247:248], v[143:144], s[22:23], v[139:140]
	v_fma_f64 v[139:140], v[143:144], s[22:23], -v[139:140]
	v_fma_f64 v[183:184], v[143:144], s[18:19], -v[183:184]
	;; [unrolled: 1-line block ×5, first 2 shown]
	v_fma_f64 v[143:144], v[143:144], s[6:7], v[185:186]
	v_mul_f64 v[205:206], v[147:148], s[30:31]
	v_mul_f64 v[209:210], v[147:148], s[50:51]
	;; [unrolled: 1-line block ×3, first 2 shown]
	v_fma_f64 v[6:7], v[145:146], s[12:13], v[189:190]
	v_fma_f64 v[189:190], v[145:146], s[12:13], -v[189:190]
	v_fma_f64 v[8:9], v[145:146], s[2:3], v[191:192]
	v_fma_f64 v[10:11], v[145:146], s[2:3], -v[191:192]
	;; [unrolled: 2-line block ×8, first 2 shown]
	v_mul_f64 v[203:204], v[147:148], s[52:53]
	v_mul_f64 v[207:208], v[147:148], s[56:57]
	v_add_f64 v[137:138], v[124:125], v[137:138]
	v_add_f64 v[141:142], v[76:77], v[235:236]
	;; [unrolled: 1-line block ×7, first 2 shown]
	v_mul_f64 v[213:214], v[147:148], s[42:43]
	v_mul_f64 v[215:216], v[147:148], s[44:45]
	;; [unrolled: 1-line block ×3, first 2 shown]
	v_add_f64 v[177:178], v[76:77], v[177:178]
	v_add_f64 v[239:240], v[76:77], v[243:244]
	;; [unrolled: 1-line block ×10, first 2 shown]
	v_mul_f64 v[217:218], v[151:152], s[44:45]
	v_mul_f64 v[223:224], v[151:152], s[38:39]
	v_mul_f64 v[225:226], v[151:152], s[52:53]
	v_fma_f64 v[28:29], v[149:150], s[18:19], v[205:206]
	v_fma_f64 v[32:33], v[149:150], s[16:17], v[209:210]
	v_fma_f64 v[34:35], v[149:150], s[16:17], -v[209:210]
	v_fma_f64 v[209:210], v[149:150], s[12:13], v[211:212]
	v_mul_f64 v[219:220], v[151:152], s[40:41]
	v_mul_f64 v[221:222], v[151:152], s[50:51]
	;; [unrolled: 1-line block ×4, first 2 shown]
	v_fma_f64 v[30:31], v[149:150], s[18:19], -v[205:206]
	v_mul_f64 v[151:152], v[151:152], s[34:35]
	v_fma_f64 v[211:212], v[149:150], s[12:13], -v[211:212]
	v_add_f64 v[163:164], v[122:123], -v[94:95]
	v_mul_f64 v[251:252], v[158:159], s[52:53]
	v_fma_f64 v[26:27], v[149:150], s[6:7], v[203:204]
	v_fma_f64 v[203:204], v[149:150], s[6:7], -v[203:204]
	v_add_f64 v[137:138], v[116:117], v[137:138]
	v_add_f64 v[6:7], v[6:7], v[141:142]
	;; [unrolled: 1-line block ×7, first 2 shown]
	v_fma_f64 v[36:37], v[149:150], s[14:15], v[213:214]
	v_fma_f64 v[38:39], v[149:150], s[14:15], -v[213:214]
	v_fma_f64 v[213:214], v[149:150], s[2:3], v[215:216]
	v_fma_f64 v[40:41], v[149:150], s[20:21], v[147:148]
	v_fma_f64 v[42:43], v[149:150], s[20:21], -v[147:148]
	v_add_f64 v[10:11], v[10:11], v[177:178]
	v_add_f64 v[16:17], v[16:17], v[239:240]
	;; [unrolled: 1-line block ×5, first 2 shown]
	v_fma_f64 v[215:216], v[149:150], s[2:3], -v[215:216]
	v_add_f64 v[18:19], v[18:19], v[183:184]
	v_add_f64 v[139:140], v[201:202], v[187:188]
	v_fma_f64 v[205:206], v[149:150], s[22:23], v[207:208]
	v_fma_f64 v[207:208], v[149:150], s[22:23], -v[207:208]
	v_add_f64 v[149:150], v[197:198], v[181:182]
	v_add_f64 v[175:176], v[193:194], v[245:246]
	;; [unrolled: 1-line block ×3, first 2 shown]
	v_mul_f64 v[253:254], v[158:159], s[40:41]
	v_fma_f64 v[187:188], v[153:154], s[2:3], v[217:218]
	v_fma_f64 v[189:190], v[153:154], s[2:3], -v[217:218]
	v_fma_f64 v[199:200], v[153:154], s[14:15], v[223:224]
	v_fma_f64 v[201:202], v[153:154], s[14:15], -v[223:224]
	v_fma_f64 v[217:218], v[153:154], s[6:7], v[225:226]
	v_mul_f64 v[155:156], v[158:159], s[26:27]
	v_mul_f64 v[4:5], v[158:159], s[42:43]
	v_fma_f64 v[191:192], v[153:154], s[22:23], v[219:220]
	v_fma_f64 v[193:194], v[153:154], s[22:23], -v[219:220]
	v_fma_f64 v[195:196], v[153:154], s[16:17], v[221:222]
	v_fma_f64 v[197:198], v[153:154], s[16:17], -v[221:222]
	v_fma_f64 v[219:220], v[153:154], s[6:7], -v[225:226]
	v_add_f64 v[137:138], v[120:121], v[137:138]
	v_fma_f64 v[221:222], v[153:154], s[20:21], v[227:228]
	v_fma_f64 v[225:226], v[153:154], s[18:19], v[229:230]
	v_add_f64 v[8:9], v[28:29], v[8:9]
	v_add_f64 v[12:13], v[32:33], v[12:13]
	;; [unrolled: 1-line block ×4, first 2 shown]
	v_mul_f64 v[143:144], v[158:159], s[30:31]
	v_fma_f64 v[223:224], v[153:154], s[20:21], -v[227:228]
	v_fma_f64 v[227:228], v[153:154], s[18:19], -v[229:230]
	v_fma_f64 v[229:230], v[153:154], s[12:13], v[151:152]
	v_fma_f64 v[151:152], v[153:154], s[12:13], -v[151:152]
	v_add_f64 v[10:11], v[30:31], v[10:11]
	v_add_f64 v[16:17], v[36:37], v[16:17]
	;; [unrolled: 1-line block ×5, first 2 shown]
	v_mul_f64 v[233:234], v[158:159], s[54:55]
	v_add_f64 v[18:19], v[38:39], v[18:19]
	v_add_f64 v[32:33], v[215:216], v[139:140]
	v_mul_f64 v[185:186], v[158:159], s[34:35]
	v_mul_f64 v[231:232], v[158:159], s[24:25]
	v_add_f64 v[34:35], v[211:212], v[149:150]
	v_add_f64 v[36:37], v[207:208], v[175:176]
	;; [unrolled: 1-line block ×6, first 2 shown]
	v_add_f64 v[167:168], v[110:111], -v[102:103]
	v_mul_f64 v[24:25], v[163:164], s[36:37]
	v_mul_f64 v[177:178], v[163:164], s[26:27]
	v_fma_f64 v[203:204], v[160:161], s[6:7], v[251:252]
	v_fma_f64 v[205:206], v[160:161], s[6:7], -v[251:252]
	v_fma_f64 v[207:208], v[160:161], s[22:23], v[253:254]
	v_mul_f64 v[179:180], v[163:164], s[48:49]
	v_mul_f64 v[181:182], v[163:164], s[40:41]
	v_fma_f64 v[211:212], v[160:161], s[2:3], v[155:156]
	v_fma_f64 v[213:214], v[160:161], s[14:15], v[4:5]
	v_add_f64 v[137:138], v[108:109], v[137:138]
	v_mul_f64 v[157:158], v[163:164], s[30:31]
	v_mul_f64 v[247:248], v[163:164], s[50:51]
	;; [unrolled: 1-line block ×3, first 2 shown]
	v_add_f64 v[12:13], v[199:200], v[12:13]
	v_add_f64 v[14:15], v[201:202], v[14:15]
	;; [unrolled: 1-line block ×3, first 2 shown]
	v_mul_f64 v[163:164], v[163:164], s[28:29]
	v_fma_f64 v[215:216], v[160:161], s[18:19], v[143:144]
	v_fma_f64 v[143:144], v[160:161], s[18:19], -v[143:144]
	v_fma_f64 v[155:156], v[160:161], s[2:3], -v[155:156]
	;; [unrolled: 1-line block ×4, first 2 shown]
	v_add_f64 v[16:17], v[221:222], v[16:17]
	v_add_f64 v[30:31], v[225:226], v[30:31]
	;; [unrolled: 1-line block ×4, first 2 shown]
	v_fma_f64 v[153:154], v[160:161], s[20:21], -v[233:234]
	v_add_f64 v[18:19], v[223:224], v[18:19]
	v_add_f64 v[32:33], v[227:228], v[32:33]
	v_fma_f64 v[175:176], v[160:161], s[12:13], v[185:186]
	v_fma_f64 v[185:186], v[160:161], s[12:13], -v[185:186]
	v_add_f64 v[34:35], v[219:220], v[34:35]
	v_add_f64 v[10:11], v[193:194], v[10:11]
	;; [unrolled: 1-line block ×3, first 2 shown]
	v_fma_f64 v[145:146], v[160:161], s[16:17], v[231:232]
	v_add_f64 v[6:7], v[187:188], v[6:7]
	v_fma_f64 v[149:150], v[160:161], s[20:21], v[233:234]
	v_add_f64 v[8:9], v[191:192], v[8:9]
	v_add_f64 v[40:41], v[195:196], v[40:41]
	v_fma_f64 v[147:148], v[160:161], s[16:17], -v[231:232]
	v_add_f64 v[26:27], v[189:190], v[26:27]
	v_add_f64 v[169:170], v[100:101], v[108:109]
	v_add_f64 v[171:172], v[106:107], -v[98:99]
	v_mul_f64 v[183:184], v[167:168], s[36:37]
	v_mul_f64 v[139:140], v[167:168], s[42:43]
	v_fma_f64 v[201:202], v[165:166], s[20:21], v[24:25]
	v_fma_f64 v[24:25], v[165:166], s[20:21], -v[24:25]
	v_add_f64 v[137:138], v[104:105], v[137:138]
	v_fma_f64 v[217:218], v[165:166], s[2:3], v[177:178]
	v_mul_f64 v[141:142], v[167:168], s[40:41]
	v_mul_f64 v[151:152], v[167:168], s[34:35]
	v_add_f64 v[12:13], v[203:204], v[12:13]
	v_add_f64 v[14:15], v[205:206], v[14:15]
	;; [unrolled: 1-line block ×3, first 2 shown]
	v_fma_f64 v[219:220], v[165:166], s[12:13], v[179:180]
	v_fma_f64 v[221:222], v[165:166], s[22:23], v[181:182]
	v_mul_f64 v[159:160], v[167:168], s[24:25]
	v_fma_f64 v[223:224], v[165:166], s[6:7], v[163:164]
	v_fma_f64 v[163:164], v[165:166], s[6:7], -v[163:164]
	v_fma_f64 v[179:180], v[165:166], s[12:13], -v[179:180]
	v_add_f64 v[16:17], v[211:212], v[16:17]
	v_add_f64 v[30:31], v[213:214], v[30:31]
	;; [unrolled: 1-line block ×4, first 2 shown]
	v_fma_f64 v[181:182], v[165:166], s[22:23], -v[181:182]
	v_add_f64 v[18:19], v[155:156], v[18:19]
	v_add_f64 v[4:5], v[4:5], v[32:33]
	v_fma_f64 v[177:178], v[165:166], s[2:3], -v[177:178]
	v_mul_f64 v[42:43], v[167:168], s[28:29]
	v_add_f64 v[32:33], v[209:210], v[34:35]
	v_mul_f64 v[76:77], v[167:168], s[44:45]
	v_fma_f64 v[195:196], v[165:166], s[16:17], -v[247:248]
	v_fma_f64 v[199:200], v[165:166], s[14:15], -v[249:250]
	v_add_f64 v[10:11], v[153:154], v[10:11]
	v_add_f64 v[34:35], v[185:186], v[36:37]
	v_fma_f64 v[191:192], v[165:166], s[18:19], v[157:158]
	v_add_f64 v[6:7], v[145:146], v[6:7]
	v_fma_f64 v[193:194], v[165:166], s[16:17], v[247:248]
	v_fma_f64 v[197:198], v[165:166], s[14:15], v[249:250]
	v_add_f64 v[8:9], v[149:150], v[8:9]
	v_fma_f64 v[157:158], v[165:166], s[18:19], -v[157:158]
	v_add_f64 v[26:27], v[147:148], v[26:27]
	v_add_f64 v[173:174], v[96:97], v[104:105]
	v_mul_f64 v[143:144], v[171:172], s[30:31]
	v_fma_f64 v[153:154], v[169:170], s[20:21], v[183:184]
	v_add_f64 v[137:138], v[96:97], v[137:138]
	v_fma_f64 v[155:156], v[169:170], s[20:21], -v[183:184]
	v_fma_f64 v[183:184], v[169:170], s[14:15], v[139:140]
	v_mul_f64 v[187:188], v[171:172], s[38:39]
	v_add_f64 v[12:13], v[201:202], v[12:13]
	v_add_f64 v[14:15], v[24:25], v[14:15]
	v_add_f64 v[24:25], v[217:218], v[28:29]
	v_mul_f64 v[189:190], v[171:172], s[36:37]
	v_mul_f64 v[145:146], v[171:172], s[28:29]
	;; [unrolled: 1-line block ×3, first 2 shown]
	v_fma_f64 v[185:186], v[169:170], s[22:23], v[141:142]
	v_fma_f64 v[203:204], v[169:170], s[12:13], v[151:152]
	v_mul_f64 v[149:150], v[171:172], s[26:27]
	v_add_f64 v[16:17], v[219:220], v[16:17]
	v_add_f64 v[28:29], v[221:222], v[30:31]
	v_fma_f64 v[205:206], v[169:170], s[16:17], v[159:160]
	v_fma_f64 v[159:160], v[169:170], s[16:17], -v[159:160]
	v_add_f64 v[20:21], v[223:224], v[20:21]
	v_add_f64 v[22:23], v[163:164], v[22:23]
	v_fma_f64 v[141:142], v[169:170], s[22:23], -v[141:142]
	v_fma_f64 v[151:152], v[169:170], s[12:13], -v[151:152]
	v_add_f64 v[18:19], v[179:180], v[18:19]
	v_add_f64 v[4:5], v[181:182], v[4:5]
	v_fma_f64 v[139:140], v[169:170], s[14:15], -v[139:140]
	v_add_f64 v[30:31], v[177:178], v[32:33]
	v_fma_f64 v[165:166], v[169:170], s[6:7], v[42:43]
	v_fma_f64 v[42:43], v[169:170], s[6:7], -v[42:43]
	v_add_f64 v[10:11], v[195:196], v[10:11]
	v_add_f64 v[32:33], v[199:200], v[34:35]
	;; [unrolled: 1-line block ×3, first 2 shown]
	v_cmp_gt_u32_e64 s0, 8, v162
	v_add_f64 v[8:9], v[193:194], v[8:9]
	v_add_f64 v[26:27], v[157:158], v[26:27]
	v_fma_f64 v[181:182], v[173:174], s[18:19], v[143:144]
	v_fma_f64 v[143:144], v[173:174], s[18:19], -v[143:144]
	v_add_f64 v[137:138], v[100:101], v[137:138]
	v_fma_f64 v[163:164], v[173:174], s[14:15], v[187:188]
	v_add_f64 v[24:25], v[183:184], v[24:25]
	v_fma_f64 v[177:178], v[173:174], s[20:21], -v[189:190]
	v_fma_f64 v[191:192], v[173:174], s[2:3], v[149:150]
	v_add_f64 v[16:17], v[185:186], v[16:17]
	v_add_f64 v[28:29], v[203:204], v[28:29]
	v_fma_f64 v[149:150], v[173:174], s[2:3], -v[149:150]
	v_add_f64 v[20:21], v[205:206], v[20:21]
	v_add_f64 v[22:23], v[159:160], v[22:23]
	;; [unrolled: 1-line block ×6, first 2 shown]
	v_mul_hi_u32 v42, 0xaaaaaaab, v136
	v_add_f64 v[6:7], v[153:154], v[6:7]
	v_add_f64 v[8:9], v[165:166], v[8:9]
	;; [unrolled: 1-line block ×4, first 2 shown]
	v_mul_f64 v[137:138], v[167:168], s[46:47]
	v_mul_f64 v[167:168], v[171:172], s[40:41]
	v_add_f64 v[24:25], v[181:182], v[24:25]
	v_add_f64 v[20:21], v[191:192], v[20:21]
	;; [unrolled: 1-line block ×5, first 2 shown]
	v_add_nc_u32_e32 v163, 17, v162
	v_add_f64 v[38:39], v[88:89], v[38:39]
	v_fma_f64 v[157:158], v[173:174], s[22:23], -v[167:168]
	s_delay_alu instid0(VALU_DEP_2)
	v_add_f64 v[36:37], v[84:85], v[38:39]
	v_add_f64 v[38:39], v[175:176], v[40:41]
	v_mul_f64 v[40:41], v[171:172], s[34:35]
	v_fma_f64 v[175:176], v[169:170], s[18:19], v[137:138]
	v_fma_f64 v[137:138], v[169:170], s[18:19], -v[137:138]
	v_fma_f64 v[171:172], v[169:170], s[2:3], v[76:77]
	v_fma_f64 v[76:77], v[169:170], s[2:3], -v[76:77]
	v_fma_f64 v[169:170], v[173:174], s[20:21], v[189:190]
	v_fma_f64 v[189:190], v[173:174], s[16:17], v[147:148]
	v_fma_f64 v[147:148], v[173:174], s[16:17], -v[147:148]
	v_add_f64 v[26:27], v[157:158], v[26:27]
	v_add_f64 v[34:35], v[80:81], v[36:37]
	;; [unrolled: 1-line block ×3, first 2 shown]
	v_fma_f64 v[179:180], v[173:174], s[12:13], v[40:41]
	v_add_f64 v[12:13], v[175:176], v[12:13]
	v_fma_f64 v[38:39], v[173:174], s[22:23], v[167:168]
	v_fma_f64 v[167:168], v[173:174], s[14:15], -v[187:188]
	v_fma_f64 v[187:188], v[173:174], s[6:7], v[145:146]
	v_fma_f64 v[145:146], v[173:174], s[6:7], -v[145:146]
	v_fma_f64 v[40:41], v[173:174], s[12:13], -v[40:41]
	v_add_f64 v[14:15], v[137:138], v[14:15]
	v_add_f64 v[32:33], v[76:77], v[32:33]
	v_add_f64 v[28:29], v[189:190], v[28:29]
	v_add_f64 v[4:5], v[147:148], v[4:5]
	v_mul_u32_u24_e32 v147, 0x88, v163
	v_add_f64 v[34:35], v[68:69], v[34:35]
	v_add_f64 v[36:37], v[171:172], v[36:37]
	;; [unrolled: 1-line block ×7, first 2 shown]
	v_lshrrev_b32_e32 v38, 1, v42
	v_add_f64 v[14:15], v[40:41], v[14:15]
	v_add_f64 v[32:33], v[177:178], v[32:33]
	v_mul_u32_u24_e32 v39, 0x88, v162
	s_delay_alu instid0(VALU_DEP_4) | instskip(NEXT) | instid1(VALU_DEP_1)
	v_lshl_add_u32 v38, v38, 1, v38
	v_sub_nc_u32_e32 v38, v136, v38
	s_delay_alu instid0(VALU_DEP_1) | instskip(NEXT) | instid1(VALU_DEP_1)
	v_mul_u32_u24_e32 v38, 0x1a9, v38
	v_lshlrev_b32_e32 v146, 3, v38
	s_delay_alu instid0(VALU_DEP_1)
	v_add3_u32 v148, 0, v39, v146
	v_add_f64 v[34:35], v[60:61], v[34:35]
	v_add_f64 v[36:37], v[169:170], v[36:37]
	ds_store_2addr_b64 v148, v[12:13], v[24:25] offset0:4 offset1:5
	ds_store_2addr_b64 v148, v[16:17], v[28:29] offset0:6 offset1:7
	;; [unrolled: 1-line block ×6, first 2 shown]
	ds_store_2addr_b64 v148, v[34:35], v[6:7] offset1:1
	ds_store_2addr_b64 v148, v[8:9], v[36:37] offset0:2 offset1:3
	ds_store_b64 v148, v[26:27] offset:128
	s_and_saveexec_b32 s1, s0
	s_cbranch_execz .LBB0_14
; %bb.13:
	s_clause 0x1
	scratch_load_b128 v[206:209], off, off
	scratch_load_b128 v[218:221], off, off offset:80
	v_add3_u32 v161, 0, v147, v146
	s_waitcnt vmcnt(1)
	v_add_f64 v[76:77], v[74:75], -v[208:209]
	scratch_load_b128 v[208:211], off, off offset:16 ; 16-byte Folded Reload
	v_add_f64 v[136:137], v[206:207], v[72:73]
	s_waitcnt vmcnt(1)
	v_add_f64 v[155:156], v[46:47], -v[220:221]
	scratch_load_b128 v[220:223], off, off offset:96 ; 16-byte Folded Reload
	v_mul_f64 v[142:143], v[136:137], s[16:17]
	s_delay_alu instid0(VALU_DEP_1) | instskip(NEXT) | instid1(VALU_DEP_1)
	v_fma_f64 v[4:5], v[76:77], s[24:25], v[142:143]
	v_add_f64 v[4:5], v[0:1], v[4:5]
	s_waitcnt vmcnt(1)
	v_add_f64 v[140:141], v[208:209], v[64:65]
	v_add_f64 v[138:139], v[66:67], -v[210:211]
	scratch_load_b128 v[210:213], off, off offset:32 ; 16-byte Folded Reload
	s_waitcnt vmcnt(1)
	v_add_f64 v[170:171], v[50:51], -v[222:223]
	v_mul_f64 v[144:145], v[140:141], s[20:21]
	v_mul_f64 v[10:11], v[140:141], s[22:23]
	;; [unrolled: 1-line block ×4, first 2 shown]
	s_delay_alu instid0(VALU_DEP_4) | instskip(NEXT) | instid1(VALU_DEP_4)
	v_fma_f64 v[6:7], v[138:139], s[54:55], v[144:145]
	v_fma_f64 v[12:13], v[138:139], s[40:41], v[10:11]
	s_delay_alu instid0(VALU_DEP_4) | instskip(NEXT) | instid1(VALU_DEP_4)
	v_fma_f64 v[18:19], v[138:139], s[28:29], v[16:17]
	v_fma_f64 v[24:25], v[138:139], s[50:51], v[22:23]
	s_delay_alu instid0(VALU_DEP_4) | instskip(SKIP_1) | instid1(VALU_DEP_1)
	v_add_f64 v[4:5], v[6:7], v[4:5]
	v_mul_f64 v[6:7], v[136:137], s[2:3]
	v_fma_f64 v[8:9], v[76:77], s[44:45], v[6:7]
	v_fma_f64 v[6:7], v[76:77], s[26:27], v[6:7]
	s_delay_alu instid0(VALU_DEP_2) | instskip(NEXT) | instid1(VALU_DEP_2)
	v_add_f64 v[8:9], v[0:1], v[8:9]
	v_add_f64 v[6:7], v[0:1], v[6:7]
	s_delay_alu instid0(VALU_DEP_2) | instskip(SKIP_1) | instid1(VALU_DEP_1)
	v_add_f64 v[8:9], v[12:13], v[8:9]
	v_mul_f64 v[12:13], v[136:137], s[20:21]
	v_fma_f64 v[14:15], v[76:77], s[36:37], v[12:13]
	v_fma_f64 v[12:13], v[76:77], s[54:55], v[12:13]
	s_delay_alu instid0(VALU_DEP_2) | instskip(NEXT) | instid1(VALU_DEP_2)
	v_add_f64 v[14:15], v[0:1], v[14:15]
	v_add_f64 v[12:13], v[0:1], v[12:13]
	s_waitcnt vmcnt(0)
	v_add_f64 v[26:27], v[58:59], -v[212:213]
	s_clause 0x2
	scratch_load_b128 v[212:215], off, off offset:48
	scratch_load_b128 v[226:229], off, off offset:128
	;; [unrolled: 1-line block ×3, first 2 shown]
	v_add_f64 v[14:15], v[18:19], v[14:15]
	v_mul_f64 v[18:19], v[136:137], s[18:19]
	s_delay_alu instid0(VALU_DEP_1) | instskip(NEXT) | instid1(VALU_DEP_1)
	v_fma_f64 v[20:21], v[76:77], s[30:31], v[18:19]
	v_add_f64 v[20:21], v[0:1], v[20:21]
	s_delay_alu instid0(VALU_DEP_1) | instskip(SKIP_1) | instid1(VALU_DEP_1)
	v_add_f64 v[20:21], v[24:25], v[20:21]
	v_add_f64 v[24:25], v[210:211], v[56:57]
	v_mul_f64 v[28:29], v[24:25], s[12:13]
	s_delay_alu instid0(VALU_DEP_1) | instskip(NEXT) | instid1(VALU_DEP_1)
	v_fma_f64 v[30:31], v[26:27], s[34:35], v[28:29]
	v_add_f64 v[4:5], v[30:31], v[4:5]
	v_mul_f64 v[30:31], v[24:25], s[16:17]
	s_delay_alu instid0(VALU_DEP_1)
	v_fma_f64 v[32:33], v[26:27], s[50:51], v[30:31]
	s_waitcnt vmcnt(2)
	v_add_f64 v[38:39], v[54:55], -v[214:215]
	s_clause 0x1
	scratch_load_b128 v[214:217], off, off offset:64
	scratch_load_b128 v[222:225], off, off offset:112
	s_waitcnt vmcnt(2)
	v_add_f64 v[182:183], v[228:229], -v[232:233]
	v_add_f64 v[8:9], v[32:33], v[8:9]
	v_mul_f64 v[32:33], v[24:25], s[2:3]
	s_delay_alu instid0(VALU_DEP_1) | instskip(NEXT) | instid1(VALU_DEP_1)
	v_fma_f64 v[34:35], v[26:27], s[44:45], v[32:33]
	v_add_f64 v[14:15], v[34:35], v[14:15]
	v_mul_f64 v[34:35], v[24:25], s[14:15]
	s_delay_alu instid0(VALU_DEP_1) | instskip(NEXT) | instid1(VALU_DEP_1)
	v_fma_f64 v[36:37], v[26:27], s[42:43], v[34:35]
	v_add_f64 v[20:21], v[36:37], v[20:21]
	v_add_f64 v[36:37], v[212:213], v[52:53]
	s_delay_alu instid0(VALU_DEP_1) | instskip(NEXT) | instid1(VALU_DEP_1)
	v_mul_f64 v[40:41], v[36:37], s[6:7]
	v_fma_f64 v[42:43], v[38:39], s[52:53], v[40:41]
	s_delay_alu instid0(VALU_DEP_1) | instskip(SKIP_1) | instid1(VALU_DEP_1)
	v_add_f64 v[4:5], v[42:43], v[4:5]
	v_mul_f64 v[42:43], v[36:37], s[14:15]
	v_fma_f64 v[149:150], v[38:39], s[38:39], v[42:43]
	s_waitcnt vmcnt(0)
	v_add_f64 v[194:195], v[224:225], -v[216:217]
	s_delay_alu instid0(VALU_DEP_2) | instskip(SKIP_1) | instid1(VALU_DEP_1)
	v_add_f64 v[8:9], v[149:150], v[8:9]
	v_mul_f64 v[149:150], v[36:37], s[18:19]
	v_fma_f64 v[151:152], v[38:39], s[46:47], v[149:150]
	s_delay_alu instid0(VALU_DEP_1) | instskip(SKIP_1) | instid1(VALU_DEP_1)
	v_add_f64 v[14:15], v[151:152], v[14:15]
	v_mul_f64 v[151:152], v[36:37], s[20:21]
	v_fma_f64 v[153:154], v[38:39], s[36:37], v[151:152]
	s_delay_alu instid0(VALU_DEP_1) | instskip(SKIP_1) | instid1(VALU_DEP_1)
	v_add_f64 v[20:21], v[153:154], v[20:21]
	v_add_f64 v[153:154], v[218:219], v[44:45]
	v_mul_f64 v[157:158], v[153:154], s[22:23]
	s_delay_alu instid0(VALU_DEP_1) | instskip(NEXT) | instid1(VALU_DEP_1)
	v_fma_f64 v[159:160], v[155:156], s[40:41], v[157:158]
	v_add_f64 v[4:5], v[159:160], v[4:5]
	v_mul_f64 v[159:160], v[153:154], s[6:7]
	s_delay_alu instid0(VALU_DEP_1) | instskip(NEXT) | instid1(VALU_DEP_1)
	v_fma_f64 v[164:165], v[155:156], s[52:53], v[159:160]
	;; [unrolled: 4-line block ×4, first 2 shown]
	v_add_f64 v[20:21], v[168:169], v[20:21]
	v_add_f64 v[168:169], v[220:221], v[48:49]
	s_delay_alu instid0(VALU_DEP_1) | instskip(NEXT) | instid1(VALU_DEP_1)
	v_mul_f64 v[172:173], v[168:169], s[2:3]
	v_fma_f64 v[174:175], v[170:171], s[26:27], v[172:173]
	s_delay_alu instid0(VALU_DEP_1) | instskip(SKIP_1) | instid1(VALU_DEP_1)
	v_add_f64 v[4:5], v[174:175], v[4:5]
	v_mul_f64 v[174:175], v[168:169], s[20:21]
	v_fma_f64 v[176:177], v[170:171], s[36:37], v[174:175]
	s_delay_alu instid0(VALU_DEP_1) | instskip(SKIP_1) | instid1(VALU_DEP_1)
	v_add_f64 v[8:9], v[176:177], v[8:9]
	;; [unrolled: 4-line block ×4, first 2 shown]
	v_add_f64 v[180:181], v[230:231], v[226:227]
	v_mul_f64 v[184:185], v[180:181], s[14:15]
	s_delay_alu instid0(VALU_DEP_1) | instskip(NEXT) | instid1(VALU_DEP_1)
	v_fma_f64 v[186:187], v[182:183], s[42:43], v[184:185]
	v_add_f64 v[4:5], v[186:187], v[4:5]
	v_mul_f64 v[186:187], v[180:181], s[18:19]
	s_delay_alu instid0(VALU_DEP_1) | instskip(NEXT) | instid1(VALU_DEP_1)
	v_fma_f64 v[188:189], v[182:183], s[46:47], v[186:187]
	;; [unrolled: 4-line block ×4, first 2 shown]
	v_add_f64 v[20:21], v[192:193], v[20:21]
	v_add_f64 v[192:193], v[214:215], v[222:223]
	s_delay_alu instid0(VALU_DEP_1) | instskip(NEXT) | instid1(VALU_DEP_1)
	v_mul_f64 v[196:197], v[192:193], s[18:19]
	v_fma_f64 v[198:199], v[194:195], s[30:31], v[196:197]
	s_delay_alu instid0(VALU_DEP_1) | instskip(SKIP_1) | instid1(VALU_DEP_1)
	v_add_f64 v[4:5], v[198:199], v[4:5]
	v_mul_f64 v[198:199], v[192:193], s[12:13]
	v_fma_f64 v[200:201], v[194:195], s[34:35], v[198:199]
	s_delay_alu instid0(VALU_DEP_1) | instskip(SKIP_1) | instid1(VALU_DEP_1)
	v_add_f64 v[8:9], v[200:201], v[8:9]
	;; [unrolled: 4-line block ×3, first 2 shown]
	v_mul_f64 v[202:203], v[192:193], s[6:7]
	v_fma_f64 v[204:205], v[194:195], s[28:29], v[202:203]
	s_delay_alu instid0(VALU_DEP_1) | instskip(SKIP_4) | instid1(VALU_DEP_2)
	v_add_f64 v[20:21], v[204:205], v[20:21]
	ds_store_2addr_b64 v161, v[8:9], v[4:5] offset0:4 offset1:5
	ds_store_2addr_b64 v161, v[20:21], v[14:15] offset0:6 offset1:7
	v_mul_f64 v[4:5], v[136:137], s[22:23]
	v_mul_f64 v[14:15], v[140:141], s[14:15]
	v_fma_f64 v[8:9], v[76:77], s[56:57], v[4:5]
	v_fma_f64 v[4:5], v[76:77], s[40:41], v[4:5]
	s_delay_alu instid0(VALU_DEP_3) | instskip(SKIP_1) | instid1(VALU_DEP_4)
	v_fma_f64 v[20:21], v[138:139], s[42:43], v[14:15]
	v_fma_f64 v[14:15], v[138:139], s[38:39], v[14:15]
	v_add_f64 v[8:9], v[0:1], v[8:9]
	s_delay_alu instid0(VALU_DEP_4) | instskip(NEXT) | instid1(VALU_DEP_2)
	v_add_f64 v[4:5], v[0:1], v[4:5]
	v_add_f64 v[8:9], v[20:21], v[8:9]
	s_delay_alu instid0(VALU_DEP_2) | instskip(SKIP_2) | instid1(VALU_DEP_2)
	v_add_f64 v[4:5], v[14:15], v[4:5]
	v_fma_f64 v[14:15], v[138:139], s[52:53], v[16:17]
	v_fma_f64 v[16:17], v[138:139], s[24:25], v[22:23]
	v_add_f64 v[12:13], v[14:15], v[12:13]
	v_fma_f64 v[14:15], v[76:77], s[46:47], v[18:19]
	s_delay_alu instid0(VALU_DEP_1) | instskip(NEXT) | instid1(VALU_DEP_1)
	v_add_f64 v[14:15], v[0:1], v[14:15]
	v_add_f64 v[14:15], v[16:17], v[14:15]
	v_mul_f64 v[16:17], v[24:25], s[20:21]
	s_delay_alu instid0(VALU_DEP_1) | instskip(SKIP_1) | instid1(VALU_DEP_2)
	v_fma_f64 v[18:19], v[26:27], s[54:55], v[16:17]
	v_fma_f64 v[16:17], v[26:27], s[36:37], v[16:17]
	v_add_f64 v[8:9], v[18:19], v[8:9]
	s_delay_alu instid0(VALU_DEP_2) | instskip(SKIP_1) | instid1(VALU_DEP_1)
	v_add_f64 v[4:5], v[16:17], v[4:5]
	v_fma_f64 v[16:17], v[26:27], s[26:27], v[32:33]
	v_add_f64 v[12:13], v[16:17], v[12:13]
	v_fma_f64 v[16:17], v[26:27], s[38:39], v[34:35]
	s_delay_alu instid0(VALU_DEP_1) | instskip(SKIP_1) | instid1(VALU_DEP_1)
	v_add_f64 v[14:15], v[16:17], v[14:15]
	v_mul_f64 v[16:17], v[36:37], s[12:13]
	v_fma_f64 v[18:19], v[38:39], s[48:49], v[16:17]
	v_fma_f64 v[16:17], v[38:39], s[34:35], v[16:17]
	s_delay_alu instid0(VALU_DEP_2) | instskip(NEXT) | instid1(VALU_DEP_2)
	v_add_f64 v[8:9], v[18:19], v[8:9]
	v_add_f64 v[4:5], v[16:17], v[4:5]
	v_fma_f64 v[16:17], v[38:39], s[30:31], v[149:150]
	s_delay_alu instid0(VALU_DEP_1) | instskip(SKIP_1) | instid1(VALU_DEP_1)
	v_add_f64 v[12:13], v[16:17], v[12:13]
	v_fma_f64 v[16:17], v[38:39], s[54:55], v[151:152]
	v_add_f64 v[14:15], v[16:17], v[14:15]
	v_mul_f64 v[16:17], v[153:154], s[18:19]
	s_delay_alu instid0(VALU_DEP_1) | instskip(SKIP_1) | instid1(VALU_DEP_2)
	v_fma_f64 v[18:19], v[155:156], s[46:47], v[16:17]
	v_fma_f64 v[16:17], v[155:156], s[30:31], v[16:17]
	v_add_f64 v[8:9], v[18:19], v[8:9]
	s_delay_alu instid0(VALU_DEP_2) | instskip(SKIP_1) | instid1(VALU_DEP_1)
	v_add_f64 v[4:5], v[16:17], v[4:5]
	v_fma_f64 v[16:17], v[155:156], s[38:39], v[164:165]
	v_add_f64 v[12:13], v[16:17], v[12:13]
	v_fma_f64 v[16:17], v[155:156], s[44:45], v[166:167]
	s_delay_alu instid0(VALU_DEP_1) | instskip(SKIP_1) | instid1(VALU_DEP_1)
	v_add_f64 v[14:15], v[16:17], v[14:15]
	v_mul_f64 v[16:17], v[168:169], s[6:7]
	v_fma_f64 v[18:19], v[170:171], s[52:53], v[16:17]
	v_fma_f64 v[16:17], v[170:171], s[28:29], v[16:17]
	s_delay_alu instid0(VALU_DEP_2) | instskip(NEXT) | instid1(VALU_DEP_2)
	v_add_f64 v[8:9], v[18:19], v[8:9]
	v_add_f64 v[4:5], v[16:17], v[4:5]
	v_fma_f64 v[16:17], v[170:171], s[56:57], v[176:177]
	s_delay_alu instid0(VALU_DEP_1) | instskip(SKIP_1) | instid1(VALU_DEP_1)
	v_add_f64 v[12:13], v[16:17], v[12:13]
	v_fma_f64 v[16:17], v[170:171], s[34:35], v[178:179]
	v_add_f64 v[14:15], v[16:17], v[14:15]
	v_mul_f64 v[16:17], v[180:181], s[16:17]
	s_delay_alu instid0(VALU_DEP_1) | instskip(SKIP_1) | instid1(VALU_DEP_2)
	v_fma_f64 v[18:19], v[182:183], s[50:51], v[16:17]
	v_fma_f64 v[16:17], v[182:183], s[24:25], v[16:17]
	v_add_f64 v[8:9], v[18:19], v[8:9]
	s_delay_alu instid0(VALU_DEP_2) | instskip(SKIP_1) | instid1(VALU_DEP_1)
	v_add_f64 v[4:5], v[16:17], v[4:5]
	v_fma_f64 v[16:17], v[182:183], s[48:49], v[188:189]
	v_add_f64 v[12:13], v[16:17], v[12:13]
	v_fma_f64 v[16:17], v[182:183], s[56:57], v[190:191]
	s_delay_alu instid0(VALU_DEP_1) | instskip(SKIP_1) | instid1(VALU_DEP_1)
	v_add_f64 v[14:15], v[16:17], v[14:15]
	v_mul_f64 v[16:17], v[192:193], s[2:3]
	v_fma_f64 v[18:19], v[194:195], s[44:45], v[16:17]
	v_fma_f64 v[16:17], v[194:195], s[26:27], v[16:17]
	s_delay_alu instid0(VALU_DEP_2) | instskip(NEXT) | instid1(VALU_DEP_2)
	v_add_f64 v[8:9], v[18:19], v[8:9]
	v_add_f64 v[4:5], v[16:17], v[4:5]
	v_fma_f64 v[16:17], v[194:195], s[50:51], v[200:201]
	v_mul_f64 v[18:19], v[140:141], s[2:3]
	s_delay_alu instid0(VALU_DEP_2) | instskip(SKIP_1) | instid1(VALU_DEP_3)
	v_add_f64 v[12:13], v[16:17], v[12:13]
	v_fma_f64 v[16:17], v[194:195], s[52:53], v[202:203]
	v_fma_f64 v[20:21], v[138:139], s[26:27], v[18:19]
	s_delay_alu instid0(VALU_DEP_2)
	v_add_f64 v[14:15], v[16:17], v[14:15]
	ds_store_2addr_b64 v161, v[4:5], v[8:9] offset0:8 offset1:9
	ds_store_2addr_b64 v161, v[12:13], v[14:15] offset0:10 offset1:11
	v_fma_f64 v[4:5], v[76:77], s[50:51], v[142:143]
	v_fma_f64 v[8:9], v[138:139], s[36:37], v[144:145]
	v_mul_f64 v[12:13], v[140:141], s[18:19]
	s_delay_alu instid0(VALU_DEP_3) | instskip(NEXT) | instid1(VALU_DEP_2)
	v_add_f64 v[4:5], v[0:1], v[4:5]
	v_fma_f64 v[14:15], v[138:139], s[46:47], v[12:13]
	s_delay_alu instid0(VALU_DEP_2) | instskip(SKIP_1) | instid1(VALU_DEP_1)
	v_add_f64 v[4:5], v[8:9], v[4:5]
	v_fma_f64 v[8:9], v[138:139], s[56:57], v[10:11]
	v_add_f64 v[6:7], v[8:9], v[6:7]
	v_mul_f64 v[8:9], v[136:137], s[6:7]
	s_delay_alu instid0(VALU_DEP_1) | instskip(NEXT) | instid1(VALU_DEP_1)
	v_fma_f64 v[10:11], v[76:77], s[28:29], v[8:9]
	v_add_f64 v[10:11], v[0:1], v[10:11]
	s_delay_alu instid0(VALU_DEP_1) | instskip(SKIP_1) | instid1(VALU_DEP_1)
	v_add_f64 v[10:11], v[14:15], v[10:11]
	v_mul_f64 v[14:15], v[136:137], s[12:13]
	v_fma_f64 v[16:17], v[76:77], s[34:35], v[14:15]
	s_delay_alu instid0(VALU_DEP_1) | instskip(NEXT) | instid1(VALU_DEP_1)
	v_add_f64 v[16:17], v[0:1], v[16:17]
	v_add_f64 v[16:17], v[20:21], v[16:17]
	v_fma_f64 v[20:21], v[26:27], s[48:49], v[28:29]
	s_delay_alu instid0(VALU_DEP_1) | instskip(SKIP_1) | instid1(VALU_DEP_1)
	v_add_f64 v[4:5], v[20:21], v[4:5]
	v_fma_f64 v[20:21], v[26:27], s[24:25], v[30:31]
	v_add_f64 v[6:7], v[20:21], v[6:7]
	v_mul_f64 v[20:21], v[24:25], s[22:23]
	s_delay_alu instid0(VALU_DEP_1) | instskip(NEXT) | instid1(VALU_DEP_1)
	v_fma_f64 v[22:23], v[26:27], s[40:41], v[20:21]
	v_add_f64 v[10:11], v[22:23], v[10:11]
	v_mul_f64 v[22:23], v[24:25], s[18:19]
	s_delay_alu instid0(VALU_DEP_1) | instskip(NEXT) | instid1(VALU_DEP_1)
	v_fma_f64 v[28:29], v[26:27], s[46:47], v[22:23]
	v_add_f64 v[16:17], v[28:29], v[16:17]
	v_fma_f64 v[28:29], v[38:39], s[28:29], v[40:41]
	s_delay_alu instid0(VALU_DEP_1) | instskip(SKIP_1) | instid1(VALU_DEP_1)
	v_add_f64 v[4:5], v[28:29], v[4:5]
	v_fma_f64 v[28:29], v[38:39], s[42:43], v[42:43]
	v_add_f64 v[6:7], v[28:29], v[6:7]
	v_mul_f64 v[28:29], v[36:37], s[16:17]
	s_delay_alu instid0(VALU_DEP_1) | instskip(NEXT) | instid1(VALU_DEP_1)
	v_fma_f64 v[30:31], v[38:39], s[24:25], v[28:29]
	v_add_f64 v[10:11], v[30:31], v[10:11]
	v_mul_f64 v[30:31], v[36:37], s[22:23]
	s_delay_alu instid0(VALU_DEP_1) | instskip(NEXT) | instid1(VALU_DEP_1)
	v_fma_f64 v[32:33], v[38:39], s[56:57], v[30:31]
	;; [unrolled: 13-line block ×6, first 2 shown]
	v_add_f64 v[16:17], v[157:158], v[16:17]
	ds_store_2addr_b64 v161, v[4:5], v[6:7] offset0:12 offset1:13
	ds_store_2addr_b64 v161, v[10:11], v[16:17] offset0:14 offset1:15
	v_fma_f64 v[4:5], v[76:77], s[52:53], v[8:9]
	v_fma_f64 v[6:7], v[138:139], s[30:31], v[12:13]
	;; [unrolled: 1-line block ×3, first 2 shown]
	v_mul_f64 v[10:11], v[140:141], s[12:13]
	s_delay_alu instid0(VALU_DEP_4) | instskip(NEXT) | instid1(VALU_DEP_1)
	v_add_f64 v[4:5], v[0:1], v[4:5]
	v_add_f64 v[4:5], v[6:7], v[4:5]
	v_fma_f64 v[6:7], v[76:77], s[48:49], v[14:15]
	s_delay_alu instid0(VALU_DEP_4) | instskip(NEXT) | instid1(VALU_DEP_2)
	v_fma_f64 v[14:15], v[138:139], s[48:49], v[10:11]
	v_add_f64 v[6:7], v[0:1], v[6:7]
	s_delay_alu instid0(VALU_DEP_1) | instskip(SKIP_1) | instid1(VALU_DEP_1)
	v_add_f64 v[6:7], v[8:9], v[6:7]
	v_mul_f64 v[8:9], v[136:137], s[14:15]
	v_fma_f64 v[12:13], v[76:77], s[42:43], v[8:9]
	s_delay_alu instid0(VALU_DEP_1) | instskip(NEXT) | instid1(VALU_DEP_1)
	v_add_f64 v[12:13], v[0:1], v[12:13]
	v_add_f64 v[12:13], v[14:15], v[12:13]
	v_fma_f64 v[14:15], v[26:27], s[56:57], v[20:21]
	s_delay_alu instid0(VALU_DEP_1) | instskip(SKIP_1) | instid1(VALU_DEP_1)
	v_add_f64 v[4:5], v[14:15], v[4:5]
	v_fma_f64 v[14:15], v[26:27], s[30:31], v[22:23]
	v_add_f64 v[6:7], v[14:15], v[6:7]
	v_mul_f64 v[14:15], v[24:25], s[6:7]
	s_delay_alu instid0(VALU_DEP_1) | instskip(NEXT) | instid1(VALU_DEP_1)
	v_fma_f64 v[16:17], v[26:27], s[52:53], v[14:15]
	v_add_f64 v[12:13], v[16:17], v[12:13]
	v_fma_f64 v[16:17], v[38:39], s[50:51], v[28:29]
	s_delay_alu instid0(VALU_DEP_1) | instskip(SKIP_1) | instid1(VALU_DEP_1)
	v_add_f64 v[4:5], v[16:17], v[4:5]
	v_fma_f64 v[16:17], v[38:39], s[40:41], v[30:31]
	v_add_f64 v[6:7], v[16:17], v[6:7]
	v_mul_f64 v[16:17], v[36:37], s[2:3]
	s_delay_alu instid0(VALU_DEP_1) | instskip(NEXT) | instid1(VALU_DEP_1)
	v_fma_f64 v[18:19], v[38:39], s[44:45], v[16:17]
	;; [unrolled: 9-line block ×6, first 2 shown]
	v_add_f64 v[12:13], v[28:29], v[12:13]
	v_add_f64 v[28:29], v[72:73], v[0:1]
	s_delay_alu instid0(VALU_DEP_1) | instskip(NEXT) | instid1(VALU_DEP_1)
	v_add_f64 v[28:29], v[64:65], v[28:29]
	v_add_f64 v[28:29], v[56:57], v[28:29]
	s_delay_alu instid0(VALU_DEP_1) | instskip(NEXT) | instid1(VALU_DEP_1)
	;; [unrolled: 3-line block ×7, first 2 shown]
	v_add_f64 v[28:29], v[210:211], v[28:29]
	v_add_f64 v[28:29], v[208:209], v[28:29]
	s_delay_alu instid0(VALU_DEP_1)
	v_add_f64 v[28:29], v[206:207], v[28:29]
	ds_store_2addr_b64 v161, v[6:7], v[4:5] offset0:2 offset1:3
	ds_store_2addr_b64 v161, v[28:29], v[12:13] offset1:1
	v_fma_f64 v[4:5], v[76:77], s[38:39], v[8:9]
	v_fma_f64 v[6:7], v[138:139], s[34:35], v[10:11]
	;; [unrolled: 1-line block ×3, first 2 shown]
	s_delay_alu instid0(VALU_DEP_3) | instskip(SKIP_1) | instid1(VALU_DEP_2)
	v_add_f64 v[0:1], v[0:1], v[4:5]
	v_fma_f64 v[4:5], v[38:39], s[26:27], v[16:17]
	v_add_f64 v[0:1], v[6:7], v[0:1]
	v_fma_f64 v[6:7], v[155:156], s[50:51], v[18:19]
	s_delay_alu instid0(VALU_DEP_2) | instskip(NEXT) | instid1(VALU_DEP_1)
	v_add_f64 v[0:1], v[8:9], v[0:1]
	v_add_f64 v[0:1], v[4:5], v[0:1]
	v_fma_f64 v[4:5], v[170:171], s[46:47], v[20:21]
	s_delay_alu instid0(VALU_DEP_2) | instskip(SKIP_1) | instid1(VALU_DEP_2)
	v_add_f64 v[0:1], v[6:7], v[0:1]
	v_fma_f64 v[6:7], v[182:183], s[54:55], v[22:23]
	v_add_f64 v[0:1], v[4:5], v[0:1]
	v_fma_f64 v[4:5], v[194:195], s[56:57], v[24:25]
	s_delay_alu instid0(VALU_DEP_2) | instskip(NEXT) | instid1(VALU_DEP_1)
	v_add_f64 v[0:1], v[6:7], v[0:1]
	v_add_f64 v[0:1], v[4:5], v[0:1]
	ds_store_b64 v161, v[0:1] offset:128
.LBB0_14:
	s_or_b32 exec_lo, exec_lo, s1
	v_add_f64 v[0:1], v[114:115], v[78:79]
	v_add_f64 v[4:5], v[112:113], -v[60:61]
	v_add_f64 v[6:7], v[132:133], -v[68:69]
	v_add_f64 v[12:13], v[62:63], v[114:115]
	v_add_f64 v[8:9], v[128:129], -v[80:81]
	v_add_f64 v[10:11], v[124:125], -v[84:85]
	;; [unrolled: 3-line block ×3, first 2 shown]
	v_add_f64 v[34:35], v[108:109], -v[100:101]
	v_add_f64 v[60:61], v[104:105], -v[96:97]
	v_add_f64 v[16:17], v[82:83], v[130:131]
	v_add_f64 v[28:29], v[102:103], v[110:111]
	;; [unrolled: 1-line block ×6, first 2 shown]
	s_waitcnt lgkmcnt(0)
	s_waitcnt_vscnt null, 0x0
	s_barrier
	buffer_gl0_inv
	v_add_f64 v[0:1], v[134:135], v[0:1]
	v_mul_f64 v[30:31], v[4:5], s[42:43]
	v_mul_f64 v[32:33], v[4:5], s[48:49]
	v_mul_f64 v[36:37], v[4:5], s[44:45]
	v_mul_f64 v[40:41], v[4:5], s[24:25]
	v_mul_f64 v[42:43], v[4:5], s[30:31]
	v_mul_f64 v[68:69], v[4:5], s[36:37]
	v_mul_f64 v[76:77], v[4:5], s[40:41]
	v_mul_f64 v[4:5], v[4:5], s[52:53]
	v_mul_f64 v[80:81], v[6:7], s[48:49]
	v_mul_f64 v[84:85], v[6:7], s[44:45]
	v_mul_f64 v[88:89], v[6:7], s[30:31]
	v_mul_f64 v[92:93], v[6:7], s[40:41]
	v_mul_f64 v[96:97], v[6:7], s[54:55]
	v_mul_f64 v[100:101], v[6:7], s[50:51]
	v_mul_f64 v[104:105], v[6:7], s[28:29]
	v_mul_f64 v[6:7], v[6:7], s[38:39]
	v_mul_f64 v[108:109], v[8:9], s[52:53]
	v_mul_f64 v[114:115], v[8:9], s[50:51]
	v_mul_f64 v[116:117], v[8:9], s[34:35]
	v_mul_f64 v[112:113], v[8:9], s[56:57]
	v_mul_f64 v[120:121], v[8:9], s[44:45]
	v_mul_f64 v[124:125], v[10:11], s[40:41]
	v_mul_f64 v[128:129], v[10:11], s[38:39]
	v_mul_f64 v[132:133], v[10:11], s[36:37]
	v_mul_f64 v[134:135], v[10:11], s[46:47]
	v_mul_f64 v[136:137], v[22:23], s[24:25]
	v_mul_f64 v[138:139], v[22:23], s[54:55]
	v_mul_f64 v[159:160], v[22:23], s[40:41]
	v_mul_f64 v[164:165], v[22:23], s[26:27]
	v_mul_f64 v[166:167], v[22:23], s[42:43]
	v_mul_f64 v[184:185], v[26:27], s[36:37]
	v_add_f64 v[0:1], v[130:131], v[0:1]
	v_fma_f64 v[140:141], v[12:13], s[14:15], -v[30:31]
	v_fma_f64 v[142:143], v[12:13], s[12:13], -v[32:33]
	v_fma_f64 v[32:33], v[12:13], s[12:13], v[32:33]
	v_fma_f64 v[144:145], v[12:13], s[2:3], -v[36:37]
	v_fma_f64 v[36:37], v[12:13], s[2:3], v[36:37]
	v_fma_f64 v[149:150], v[12:13], s[16:17], -v[40:41]
	v_fma_f64 v[151:152], v[12:13], s[18:19], -v[42:43]
	v_fma_f64 v[42:43], v[12:13], s[18:19], v[42:43]
	v_fma_f64 v[153:154], v[12:13], s[20:21], -v[68:69]
	v_fma_f64 v[155:156], v[12:13], s[22:23], -v[76:77]
	v_fma_f64 v[76:77], v[12:13], s[22:23], v[76:77]
	v_fma_f64 v[68:69], v[12:13], s[20:21], v[68:69]
	;; [unrolled: 1-line block ×4, first 2 shown]
	v_fma_f64 v[4:5], v[12:13], s[6:7], -v[4:5]
	v_fma_f64 v[12:13], v[12:13], s[14:15], v[30:31]
	v_fma_f64 v[168:169], v[14:15], s[12:13], -v[80:81]
	v_fma_f64 v[80:81], v[14:15], s[12:13], v[80:81]
	;; [unrolled: 2-line block ×9, first 2 shown]
	v_mul_f64 v[130:131], v[10:11], s[52:53]
	v_fma_f64 v[186:187], v[16:17], s[6:7], -v[108:109]
	v_fma_f64 v[192:193], v[16:17], s[16:17], -v[114:115]
	v_fma_f64 v[114:115], v[16:17], s[16:17], v[114:115]
	v_fma_f64 v[194:195], v[16:17], s[12:13], -v[116:117]
	v_add_f64 v[0:1], v[126:127], v[0:1]
	v_add_f64 v[14:15], v[78:79], v[140:141]
	;; [unrolled: 1-line block ×17, first 2 shown]
	v_mul_f64 v[126:127], v[10:11], s[50:51]
	v_fma_f64 v[108:109], v[16:17], s[6:7], v[108:109]
	v_fma_f64 v[190:191], v[16:17], s[22:23], -v[112:113]
	v_fma_f64 v[112:113], v[16:17], s[22:23], v[112:113]
	v_fma_f64 v[116:117], v[16:17], s[12:13], v[116:117]
	v_fma_f64 v[198:199], v[16:17], s[2:3], -v[120:121]
	v_fma_f64 v[120:121], v[16:17], s[2:3], v[120:121]
	v_mul_f64 v[30:31], v[22:23], s[34:35]
	v_mul_f64 v[78:79], v[26:27], s[30:31]
	;; [unrolled: 1-line block ×3, first 2 shown]
	v_add_f64 v[0:1], v[118:119], v[0:1]
	v_mul_f64 v[118:119], v[8:9], s[42:43]
	v_add_f64 v[14:15], v[168:169], v[14:15]
	v_add_f64 v[32:33], v[84:85], v[32:33]
	;; [unrolled: 1-line block ×5, first 2 shown]
	v_fma_f64 v[144:145], v[18:19], s[22:23], -v[124:125]
	v_add_f64 v[42:43], v[100:101], v[42:43]
	v_add_f64 v[100:101], v[180:181], v[151:152]
	;; [unrolled: 1-line block ×9, first 2 shown]
	v_fma_f64 v[124:125], v[18:19], s[22:23], v[124:125]
	v_fma_f64 v[151:152], v[18:19], s[14:15], -v[128:129]
	v_fma_f64 v[128:129], v[18:19], s[14:15], v[128:129]
	v_fma_f64 v[153:154], v[18:19], s[6:7], -v[130:131]
	;; [unrolled: 2-line block ×4, first 2 shown]
	v_fma_f64 v[134:135], v[18:19], s[18:19], v[134:135]
	v_mul_f64 v[80:81], v[26:27], s[26:27]
	v_mul_f64 v[88:89], v[26:27], s[48:49]
	;; [unrolled: 1-line block ×3, first 2 shown]
	v_fma_f64 v[172:173], v[20:21], s[2:3], -v[164:165]
	v_fma_f64 v[164:165], v[20:21], s[2:3], v[164:165]
	v_fma_f64 v[174:175], v[20:21], s[14:15], -v[166:167]
	v_fma_f64 v[166:167], v[20:21], s[14:15], v[166:167]
	v_add_f64 v[0:1], v[122:123], v[0:1]
	v_mul_f64 v[122:123], v[10:11], s[44:45]
	v_mul_f64 v[10:11], v[10:11], s[34:35]
	v_fma_f64 v[196:197], v[16:17], s[14:15], -v[118:119]
	v_fma_f64 v[118:119], v[16:17], s[14:15], v[118:119]
	v_add_f64 v[14:15], v[186:187], v[14:15]
	v_add_f64 v[36:37], v[114:115], v[36:37]
	v_mul_f64 v[114:115], v[34:35], s[40:41]
	v_add_f64 v[100:101], v[198:199], v[100:101]
	v_add_f64 v[40:41], v[116:117], v[40:41]
	v_fma_f64 v[116:117], v[20:21], s[16:17], -v[136:137]
	v_add_f64 v[4:5], v[190:191], v[4:5]
	v_add_f64 v[12:13], v[108:109], v[12:13]
	v_mul_f64 v[108:109], v[34:35], s[46:47]
	v_add_f64 v[0:1], v[110:111], v[0:1]
	v_mul_f64 v[110:111], v[8:9], s[30:31]
	v_mul_f64 v[8:9], v[8:9], s[36:37]
	v_fma_f64 v[104:105], v[18:19], s[2:3], -v[122:123]
	v_fma_f64 v[122:123], v[18:19], s[2:3], v[122:123]
	v_add_f64 v[42:43], v[118:119], v[42:43]
	v_fma_f64 v[118:119], v[20:21], s[16:17], v[136:137]
	v_fma_f64 v[136:137], v[20:21], s[20:21], v[138:139]
	v_add_f64 v[0:1], v[106:107], v[0:1]
	v_fma_f64 v[188:189], v[16:17], s[18:19], -v[110:111]
	v_fma_f64 v[110:111], v[16:17], s[18:19], v[110:111]
	v_fma_f64 v[200:201], v[16:17], s[20:21], -v[8:9]
	v_fma_f64 v[8:9], v[16:17], s[20:21], v[8:9]
	v_add_f64 v[16:17], v[170:171], v[140:141]
	v_add_f64 v[140:141], v[178:179], v[149:150]
	v_mul_f64 v[106:107], v[22:23], s[52:53]
	v_mul_f64 v[22:23], v[22:23], s[30:31]
	v_fma_f64 v[149:150], v[18:19], s[16:17], -v[126:127]
	v_fma_f64 v[126:127], v[18:19], s[16:17], v[126:127]
	v_fma_f64 v[170:171], v[18:19], s[12:13], -v[10:11]
	v_fma_f64 v[10:11], v[18:19], s[12:13], v[10:11]
	v_add_f64 v[14:15], v[104:105], v[14:15]
	v_add_f64 v[42:43], v[132:133], v[42:43]
	;; [unrolled: 1-line block ×3, first 2 shown]
	v_fma_f64 v[122:123], v[24:25], s[18:19], -v[78:79]
	v_fma_f64 v[78:79], v[24:25], s[18:19], v[78:79]
	v_fma_f64 v[132:133], v[24:25], s[20:21], v[184:185]
	v_mul_f64 v[104:105], v[60:61], s[38:39]
	v_add_f64 v[0:1], v[98:99], v[0:1]
	v_mul_f64 v[98:99], v[26:27], s[50:51]
	v_add_f64 v[18:19], v[110:111], v[32:33]
	v_add_f64 v[32:33], v[192:193], v[84:85]
	;; [unrolled: 1-line block ×9, first 2 shown]
	v_mul_f64 v[26:27], v[26:27], s[28:29]
	v_fma_f64 v[120:121], v[20:21], s[20:21], -v[138:139]
	v_fma_f64 v[138:139], v[20:21], s[12:13], -v[30:31]
	v_fma_f64 v[30:31], v[20:21], s[12:13], v[30:31]
	v_fma_f64 v[140:141], v[20:21], s[6:7], -v[106:107]
	v_fma_f64 v[106:107], v[20:21], s[6:7], v[106:107]
	;; [unrolled: 2-line block ×4, first 2 shown]
	v_add_f64 v[4:5], v[149:150], v[4:5]
	v_mul_f64 v[112:113], v[34:35], s[42:43]
	v_fma_f64 v[149:150], v[24:25], s[22:23], -v[96:97]
	v_fma_f64 v[96:97], v[24:25], s[22:23], v[96:97]
	v_add_f64 v[14:15], v[116:117], v[14:15]
	v_mul_f64 v[76:77], v[34:35], s[28:29]
	v_add_f64 v[42:43], v[164:165], v[42:43]
	v_add_f64 v[12:13], v[118:119], v[12:13]
	;; [unrolled: 1-line block ×3, first 2 shown]
	v_mul_f64 v[102:103], v[34:35], s[36:37]
	v_add_f64 v[18:19], v[124:125], v[18:19]
	v_add_f64 v[22:23], v[151:152], v[32:33]
	v_add_f64 v[32:33], v[128:129], v[36:37]
	v_add_f64 v[36:37], v[153:154], v[84:85]
	v_add_f64 v[84:85], v[155:156], v[92:93]
	v_add_f64 v[92:93], v[168:169], v[100:101]
	v_add_f64 v[100:101], v[170:171], v[110:111]
	v_add_f64 v[6:7], v[10:11], v[6:7]
	v_add_f64 v[8:9], v[134:135], v[8:9]
	v_add_f64 v[10:11], v[130:131], v[40:41]
	v_add_f64 v[40:41], v[126:127], v[68:69]
	v_add_f64 v[16:17], v[144:145], v[16:17]
	v_fma_f64 v[124:125], v[24:25], s[16:17], -v[98:99]
	v_fma_f64 v[98:99], v[24:25], s[16:17], v[98:99]
	v_fma_f64 v[126:127], v[24:25], s[14:15], -v[157:158]
	v_fma_f64 v[128:129], v[24:25], s[14:15], v[157:158]
	v_fma_f64 v[130:131], v[24:25], s[20:21], -v[184:185]
	v_fma_f64 v[134:135], v[24:25], s[2:3], -v[80:81]
	v_fma_f64 v[80:81], v[24:25], s[2:3], v[80:81]
	v_fma_f64 v[144:145], v[24:25], s[12:13], -v[88:89]
	v_fma_f64 v[88:89], v[24:25], s[12:13], v[88:89]
	;; [unrolled: 2-line block ×3, first 2 shown]
	v_mul_f64 v[68:69], v[34:35], s[34:35]
	v_add_f64 v[4:5], v[138:139], v[4:5]
	v_add_f64 v[14:15], v[122:123], v[14:15]
	v_fma_f64 v[116:117], v[28:29], s[6:7], -v[76:77]
	v_fma_f64 v[76:77], v[28:29], s[6:7], v[76:77]
	v_fma_f64 v[138:139], v[28:29], s[22:23], -v[114:115]
	v_fma_f64 v[114:115], v[28:29], s[22:23], v[114:115]
	v_mul_f64 v[110:111], v[60:61], s[36:37]
	v_add_f64 v[12:13], v[78:79], v[12:13]
	v_add_f64 v[0:1], v[94:95], v[0:1]
	v_mul_f64 v[94:95], v[34:35], s[44:45]
	v_mul_f64 v[34:35], v[34:35], s[24:25]
	v_add_f64 v[22:23], v[140:141], v[22:23]
	v_add_f64 v[26:27], v[106:107], v[32:33]
	;; [unrolled: 1-line block ×12, first 2 shown]
	v_mul_f64 v[30:31], v[60:61], s[34:35]
	v_mul_f64 v[40:41], v[60:61], s[30:31]
	v_fma_f64 v[106:107], v[28:29], s[20:21], -v[102:103]
	v_fma_f64 v[120:121], v[28:29], s[18:19], -v[108:109]
	v_fma_f64 v[108:109], v[28:29], s[18:19], v[108:109]
	v_fma_f64 v[136:137], v[28:29], s[14:15], -v[112:113]
	v_mul_f64 v[100:101], v[60:61], s[24:25]
	v_fma_f64 v[102:103], v[28:29], s[20:21], v[102:103]
	v_fma_f64 v[112:113], v[28:29], s[14:15], v[112:113]
	v_fma_f64 v[140:141], v[28:29], s[12:13], -v[68:69]
	v_fma_f64 v[68:69], v[28:29], s[12:13], v[68:69]
	v_add_f64 v[4:5], v[126:127], v[4:5]
	v_add_f64 v[0:1], v[90:91], v[0:1]
	v_mul_f64 v[90:91], v[60:61], s[40:41]
	v_fma_f64 v[118:119], v[28:29], s[2:3], -v[94:95]
	v_add_f64 v[22:23], v[130:131], v[22:23]
	v_add_f64 v[26:27], v[132:133], v[26:27]
	;; [unrolled: 1-line block ×3, first 2 shown]
	v_fma_f64 v[94:95], v[28:29], s[2:3], v[94:95]
	v_fma_f64 v[142:143], v[28:29], s[16:17], -v[34:35]
	v_fma_f64 v[28:29], v[28:29], s[16:17], v[34:35]
	v_add_f64 v[34:35], v[144:145], v[36:37]
	v_add_f64 v[36:37], v[88:89], v[42:43]
	;; [unrolled: 1-line block ×10, first 2 shown]
	v_fma_f64 v[92:93], v[38:39], s[12:13], -v[30:31]
	v_fma_f64 v[30:31], v[38:39], s[12:13], v[30:31]
	v_fma_f64 v[96:97], v[38:39], s[18:19], -v[40:41]
	v_add_f64 v[14:15], v[106:107], v[14:15]
	v_fma_f64 v[80:81], v[38:39], s[14:15], -v[104:105]
	v_fma_f64 v[88:89], v[38:39], s[20:21], -v[110:111]
	v_fma_f64 v[40:41], v[38:39], s[18:19], v[40:41]
	v_add_f64 v[12:13], v[102:103], v[12:13]
	v_add_f64 v[0:1], v[86:87], v[0:1]
	v_mul_f64 v[86:87], v[60:61], s[28:29]
	v_mul_f64 v[60:61], v[60:61], s[26:27]
	v_fma_f64 v[24:25], v[38:39], s[22:23], -v[90:91]
	v_add_f64 v[22:23], v[120:121], v[22:23]
	v_add_f64 v[26:27], v[108:109], v[26:27]
	;; [unrolled: 1-line block ×3, first 2 shown]
	v_fma_f64 v[78:79], v[38:39], s[22:23], v[90:91]
	v_fma_f64 v[90:91], v[38:39], s[20:21], v[110:111]
	v_add_f64 v[34:35], v[138:139], v[34:35]
	v_add_f64 v[36:37], v[114:115], v[36:37]
	;; [unrolled: 1-line block ×10, first 2 shown]
	v_lshlrev_b32_e32 v68, 3, v162
	s_delay_alu instid0(VALU_DEP_1) | instskip(SKIP_1) | instid1(VALU_DEP_1)
	v_add3_u32 v160, 0, v146, v68
	v_add3_u32 v161, 0, v68, v146
	v_add_nc_u32_e32 v119, 0x400, v161
	v_add_nc_u32_e32 v118, 0x800, v161
	v_add_f64 v[0:1], v[82:83], v[0:1]
	v_fma_f64 v[82:83], v[38:39], s[14:15], v[104:105]
	v_fma_f64 v[98:99], v[38:39], s[6:7], -v[86:87]
	v_fma_f64 v[104:105], v[38:39], s[16:17], -v[100:101]
	v_fma_f64 v[86:87], v[38:39], s[6:7], v[86:87]
	v_fma_f64 v[100:101], v[38:39], s[16:17], v[100:101]
	v_fma_f64 v[110:111], v[38:39], s[2:3], -v[60:61]
	v_fma_f64 v[38:39], v[38:39], s[2:3], v[60:61]
	v_add_f64 v[60:61], v[142:143], v[84:85]
	v_add_f64 v[14:15], v[24:25], v[14:15]
	;; [unrolled: 1-line block ×8, first 2 shown]
	ds_load_b64 v[116:117], v160
	ds_load_2addr_b64 v[112:115], v161 offset0:85 offset1:102
	ds_load_2addr_b64 v[76:79], v161 offset0:153 offset1:170
	v_add_f64 v[20:21], v[90:91], v[20:21]
	v_add_f64 v[16:17], v[80:81], v[16:17]
	;; [unrolled: 1-line block ×11, first 2 shown]
	ds_load_2addr_b64 v[68:71], v161 offset0:17 offset1:34
	ds_load_2addr_b64 v[100:103], v161 offset0:187 offset1:204
	;; [unrolled: 1-line block ×10, first 2 shown]
	s_waitcnt lgkmcnt(0)
	s_barrier
	buffer_gl0_inv
	ds_store_2addr_b64 v148, v[22:23], v[26:27] offset0:4 offset1:5
	ds_store_2addr_b64 v148, v[28:29], v[32:33] offset0:6 offset1:7
	;; [unrolled: 1-line block ×6, first 2 shown]
	ds_store_2addr_b64 v148, v[0:1], v[14:15] offset1:1
	ds_store_2addr_b64 v148, v[16:17], v[4:5] offset0:2 offset1:3
	ds_store_b64 v148, v[12:13] offset:128
	s_and_saveexec_b32 s33, s0
	s_cbranch_execz .LBB0_16
; %bb.15:
	s_clause 0x1
	scratch_load_b128 v[220:223], off, off offset:32
	scratch_load_b128 v[224:227], off, off offset:48
	v_add_f64 v[0:1], v[74:75], v[2:3]
	s_clause 0x3
	scratch_load_b128 v[212:215], off, off
	scratch_load_b128 v[216:219], off, off offset:16
	scratch_load_b128 v[228:231], off, off offset:80
	;; [unrolled: 1-line block ×3, first 2 shown]
	s_mov_b32 s26, 0x5d8e7cdc
	s_mov_b32 s36, 0x2a9d6da3
	s_mov_b32 s34, 0xeb564b22
	s_mov_b32 s20, 0x923c349f
	s_mov_b32 s27, 0xbfd71e95
	s_mov_b32 s37, 0xbfe58eea
	s_mov_b32 s35, 0xbfefdd0d
	s_mov_b32 s21, 0xbfeec746
	s_mov_b32 s24, 0x6c9a05f6
	s_mov_b32 s28, 0x4363dd80
	s_mov_b32 s25, 0xbfe9895b
	s_mov_b32 s29, 0xbfe0d888
	s_mov_b32 s38, 0xacd6c6b4
	s_mov_b32 s39, 0xbfc7851a
	s_mov_b32 s44, 0x7c9e640b
	s_mov_b32 s45, 0xbfeca52d
	s_mov_b32 s0, 0x370991
	s_mov_b32 s2, 0x75d4884
	s_mov_b32 s12, 0x3259b75e
	s_mov_b32 s14, 0xc61f0d01
	s_mov_b32 s1, 0x3fedd6d0
	s_mov_b32 s3, 0x3fe7a5f6
	s_mov_b32 s13, 0x3fb79ee6
	s_mov_b32 s15, 0xbfd183b1
	s_mov_b32 s16, 0x6ed5f1bb
	s_mov_b32 s18, 0x910ea3b9
	s_mov_b32 s53, 0x3fe0d888
	s_mov_b32 s49, 0x3feec746
	s_mov_b32 s31, 0x3feca52d
	s_mov_b32 s43, 0x3fd71e95
	s_mov_b32 s52, s28
	s_mov_b32 s48, s20
	s_mov_b32 s30, s44
	v_add_f64 v[0:1], v[66:67], v[0:1]
	s_mov_b32 s42, s26
	s_mov_b32 s17, 0xbfe348c8
	;; [unrolled: 1-line block ×11, first 2 shown]
	s_delay_alu instid0(VALU_DEP_1) | instskip(NEXT) | instid1(VALU_DEP_1)
	v_add_f64 v[0:1], v[58:59], v[0:1]
	v_add_f64 v[0:1], v[54:55], v[0:1]
	s_delay_alu instid0(VALU_DEP_1) | instskip(NEXT) | instid1(VALU_DEP_1)
	v_add_f64 v[0:1], v[46:47], v[0:1]
	v_add_f64 v[0:1], v[50:51], v[0:1]
	s_waitcnt vmcnt(5)
	v_add_f64 v[14:15], v[56:57], -v[220:221]
	s_waitcnt vmcnt(4)
	v_add_f64 v[16:17], v[226:227], v[54:55]
	s_clause 0x3
	scratch_load_b128 v[54:57], off, off offset:128
	scratch_load_b128 v[236:239], off, off offset:144
	;; [unrolled: 1-line block ×4, first 2 shown]
	s_waitcnt vmcnt(7)
	v_add_f64 v[6:7], v[72:73], -v[212:213]
	v_add_f64 v[4:5], v[214:215], v[74:75]
	s_waitcnt vmcnt(6)
	v_add_f64 v[10:11], v[64:65], -v[216:217]
	s_waitcnt vmcnt(5)
	v_add_f64 v[20:21], v[230:231], v[46:47]
	v_add_f64 v[22:23], v[44:45], -v[228:229]
	s_waitcnt vmcnt(4)
	v_add_f64 v[26:27], v[48:49], -v[232:233]
	v_add_f64 v[8:9], v[218:219], v[66:67]
	v_add_f64 v[12:13], v[222:223], v[58:59]
	v_add_f64 v[18:19], v[52:53], -v[224:225]
	v_add_f64 v[24:25], v[234:235], v[50:51]
	v_mul_f64 v[72:73], v[14:15], s[44:45]
	v_mul_f64 v[74:75], v[14:15], s[24:25]
	;; [unrolled: 1-line block ×35, first 2 shown]
	v_fma_f64 v[198:199], v[12:13], s[6:7], -v[72:73]
	v_fma_f64 v[200:201], v[12:13], s[16:17], -v[74:75]
	v_fma_f64 v[74:75], v[12:13], s[16:17], v[74:75]
	v_fma_f64 v[204:205], v[12:13], s[14:15], -v[122:123]
	v_fma_f64 v[150:151], v[4:5], s[0:1], -v[36:37]
	;; [unrolled: 1-line block ×3, first 2 shown]
	v_fma_f64 v[38:39], v[4:5], s[2:3], v[38:39]
	v_fma_f64 v[154:155], v[4:5], s[12:13], -v[40:41]
	v_fma_f64 v[40:41], v[4:5], s[12:13], v[40:41]
	v_fma_f64 v[156:157], v[4:5], s[14:15], -v[42:43]
	v_fma_f64 v[158:159], v[4:5], s[16:17], -v[44:45]
	v_fma_f64 v[44:45], v[4:5], s[16:17], v[44:45]
	v_fma_f64 v[164:165], v[4:5], s[18:19], -v[46:47]
	v_fma_f64 v[166:167], v[4:5], s[22:23], -v[48:49]
	v_fma_f64 v[48:49], v[4:5], s[22:23], v[48:49]
	v_fma_f64 v[46:47], v[4:5], s[18:19], v[46:47]
	;; [unrolled: 1-line block ×3, first 2 shown]
	v_fma_f64 v[178:179], v[8:9], s[2:3], -v[50:51]
	v_fma_f64 v[50:51], v[8:9], s[2:3], v[50:51]
	v_fma_f64 v[180:181], v[8:9], s[12:13], -v[52:53]
	v_fma_f64 v[52:53], v[8:9], s[12:13], v[52:53]
	;; [unrolled: 2-line block ×5, first 2 shown]
	v_fma_f64 v[122:123], v[12:13], s[14:15], v[122:123]
	v_fma_f64 v[206:207], v[12:13], s[2:3], -v[124:125]
	v_fma_f64 v[72:73], v[12:13], s[6:7], v[72:73]
	v_fma_f64 v[202:203], v[12:13], s[22:23], -v[120:121]
	v_fma_f64 v[120:121], v[12:13], s[22:23], v[120:121]
	v_fma_f64 v[124:125], v[12:13], s[2:3], v[124:125]
	v_fma_f64 v[208:209], v[12:13], s[0:1], -v[126:127]
	v_fma_f64 v[126:127], v[12:13], s[0:1], v[126:127]
	v_fma_f64 v[210:211], v[12:13], s[12:13], -v[128:129]
	;; [unrolled: 2-line block ×3, first 2 shown]
	v_fma_f64 v[12:13], v[12:13], s[18:19], v[14:15]
	v_add_f64 v[38:39], v[2:3], v[38:39]
	v_add_f64 v[40:41], v[2:3], v[40:41]
	v_add_f64 v[44:45], v[2:3], v[44:45]
	v_add_f64 v[48:49], v[2:3], v[48:49]
	v_add_f64 v[46:47], v[2:3], v[46:47]
	v_add_f64 v[42:43], v[2:3], v[42:43]
	v_add_f64 v[38:39], v[52:53], v[38:39]
	v_add_f64 v[44:45], v[64:65], v[44:45]
	s_delay_alu instid0(VALU_DEP_4) | instskip(NEXT) | instid1(VALU_DEP_4)
	v_add_f64 v[46:47], v[66:67], v[46:47]
	v_add_f64 v[42:43], v[58:59], v[42:43]
	v_mul_f64 v[58:59], v[26:27], s[38:39]
	s_delay_alu instid0(VALU_DEP_4) | instskip(SKIP_1) | instid1(VALU_DEP_4)
	v_add_f64 v[44:45], v[126:127], v[44:45]
	v_fma_f64 v[126:127], v[20:21], s[14:15], -v[144:145]
	v_add_f64 v[42:43], v[124:125], v[42:43]
	s_waitcnt vmcnt(3)
	v_add_f64 v[0:1], v[56:57], v[0:1]
	s_waitcnt vmcnt(2)
	v_add_f64 v[28:29], v[238:239], v[56:57]
	v_add_f64 v[30:31], v[54:55], -v[236:237]
	v_mul_f64 v[54:55], v[10:11], s[24:25]
	v_mul_f64 v[56:57], v[10:11], s[38:39]
	;; [unrolled: 1-line block ×3, first 2 shown]
	s_waitcnt vmcnt(0)
	v_add_f64 v[34:35], v[168:169], -v[192:193]
	v_fma_f64 v[168:169], v[4:5], s[6:7], v[6:7]
	v_fma_f64 v[6:7], v[4:5], s[6:7], -v[6:7]
	v_fma_f64 v[4:5], v[4:5], s[0:1], v[36:37]
	v_add_f64 v[32:33], v[194:195], v[170:171]
	v_mul_f64 v[36:37], v[22:23], s[40:41]
	v_add_f64 v[0:1], v[170:171], v[0:1]
	v_mul_f64 v[170:171], v[22:23], s[44:45]
	v_mul_f64 v[66:67], v[30:31], s[28:29]
	v_fma_f64 v[182:183], v[8:9], s[16:17], -v[54:55]
	v_fma_f64 v[54:55], v[8:9], s[16:17], v[54:55]
	v_fma_f64 v[184:185], v[8:9], s[22:23], -v[56:57]
	v_fma_f64 v[56:57], v[8:9], s[22:23], v[56:57]
	;; [unrolled: 2-line block ×3, first 2 shown]
	v_add_f64 v[10:11], v[2:3], v[150:151]
	v_add_f64 v[150:151], v[2:3], v[152:153]
	;; [unrolled: 1-line block ×10, first 2 shown]
	v_mul_f64 v[4:5], v[22:23], s[24:25]
	v_mul_f64 v[22:23], v[26:27], s[24:25]
	;; [unrolled: 1-line block ×4, first 2 shown]
	v_add_f64 v[0:1], v[194:195], v[0:1]
	v_mul_f64 v[194:195], v[26:27], s[26:27]
	v_add_f64 v[40:41], v[56:57], v[40:41]
	v_add_f64 v[8:9], v[8:9], v[48:49]
	;; [unrolled: 1-line block ×12, first 2 shown]
	v_fma_f64 v[154:155], v[16:17], s[12:13], -v[130:131]
	v_fma_f64 v[130:131], v[16:17], s[12:13], v[130:131]
	v_fma_f64 v[156:157], v[16:17], s[22:23], -v[132:133]
	v_fma_f64 v[132:133], v[16:17], s[22:23], v[132:133]
	;; [unrolled: 2-line block ×8, first 2 shown]
	v_add_f64 v[18:19], v[74:75], v[38:39]
	v_mul_f64 v[50:51], v[26:27], s[46:47]
	v_mul_f64 v[54:55], v[26:27], s[36:37]
	v_add_f64 v[0:1], v[238:239], v[0:1]
	v_mul_f64 v[26:27], v[26:27], s[30:31]
	v_fma_f64 v[184:185], v[20:21], s[22:23], -v[172:173]
	v_fma_f64 v[172:173], v[20:21], s[22:23], v[172:173]
	v_fma_f64 v[186:187], v[20:21], s[12:13], -v[174:175]
	v_fma_f64 v[174:175], v[20:21], s[12:13], v[174:175]
	v_add_f64 v[40:41], v[122:123], v[40:41]
	v_fma_f64 v[188:189], v[20:21], s[0:1], -v[176:177]
	v_add_f64 v[8:9], v[12:13], v[8:9]
	v_add_f64 v[10:11], v[198:199], v[10:11]
	;; [unrolled: 1-line block ×12, first 2 shown]
	v_fma_f64 v[128:129], v[20:21], s[14:15], v[144:145]
	v_fma_f64 v[144:145], v[20:21], s[18:19], -v[148:149]
	v_fma_f64 v[148:149], v[20:21], s[18:19], v[148:149]
	v_fma_f64 v[150:151], v[20:21], s[2:3], -v[36:37]
	;; [unrolled: 2-line block ×3, first 2 shown]
	v_fma_f64 v[170:171], v[20:21], s[6:7], v[170:171]
	v_fma_f64 v[176:177], v[20:21], s[0:1], v[176:177]
	v_fma_f64 v[190:191], v[20:21], s[16:17], -v[4:5]
	v_fma_f64 v[4:5], v[20:21], s[16:17], v[4:5]
	v_add_f64 v[44:45], v[140:141], v[44:45]
	v_mul_f64 v[48:49], v[30:31], s[30:31]
	v_mul_f64 v[72:73], v[30:31], s[34:35]
	;; [unrolled: 1-line block ×4, first 2 shown]
	v_add_f64 v[18:19], v[132:133], v[18:19]
	v_fma_f64 v[140:141], v[24:25], s[0:1], -v[194:195]
	v_mul_f64 v[132:133], v[34:35], s[28:29]
	v_add_f64 v[0:1], v[234:235], v[0:1]
	v_add_f64 v[8:9], v[16:17], v[8:9]
	;; [unrolled: 1-line block ×15, first 2 shown]
	v_mul_f64 v[46:47], v[30:31], s[40:41]
	v_mul_f64 v[30:31], v[30:31], s[20:21]
	v_fma_f64 v[134:135], v[24:25], s[16:17], -v[22:23]
	v_fma_f64 v[22:23], v[24:25], s[16:17], v[22:23]
	v_fma_f64 v[136:137], v[24:25], s[14:15], -v[168:169]
	v_fma_f64 v[138:139], v[24:25], s[14:15], v[168:169]
	v_fma_f64 v[142:143], v[24:25], s[0:1], v[194:195]
	v_fma_f64 v[154:155], v[24:25], s[18:19], -v[196:197]
	v_fma_f64 v[156:157], v[24:25], s[18:19], v[196:197]
	v_fma_f64 v[158:159], v[24:25], s[12:13], -v[50:51]
	;; [unrolled: 2-line block ×5, first 2 shown]
	v_add_f64 v[0:1], v[230:231], v[0:1]
	v_fma_f64 v[24:25], v[24:25], s[6:7], v[26:27]
	v_add_f64 v[44:45], v[174:175], v[44:45]
	v_add_f64 v[18:19], v[148:149], v[18:19]
	v_mul_f64 v[74:75], v[34:35], s[38:39]
	v_mul_f64 v[130:131], v[34:35], s[42:43]
	v_fma_f64 v[148:149], v[28:29], s[12:13], -v[72:73]
	v_fma_f64 v[72:73], v[28:29], s[12:13], v[72:73]
	v_add_f64 v[4:5], v[4:5], v[8:9]
	v_add_f64 v[10:11], v[126:127], v[10:11]
	;; [unrolled: 1-line block ×14, first 2 shown]
	v_mul_f64 v[36:37], v[34:35], s[40:41]
	v_mul_f64 v[42:43], v[34:35], s[24:25]
	v_fma_f64 v[128:129], v[28:29], s[18:19], -v[66:67]
	v_fma_f64 v[66:67], v[28:29], s[18:19], v[66:67]
	v_fma_f64 v[144:145], v[28:29], s[6:7], -v[48:49]
	v_fma_f64 v[48:49], v[28:29], s[6:7], v[48:49]
	;; [unrolled: 2-line block ×7, first 2 shown]
	v_add_f64 v[0:1], v[226:227], v[0:1]
	v_mul_f64 v[64:65], v[34:35], s[30:31]
	v_mul_f64 v[126:127], v[34:35], s[20:21]
	;; [unrolled: 1-line block ×3, first 2 shown]
	v_add_f64 v[18:19], v[138:139], v[18:19]
	v_add_f64 v[4:5], v[24:25], v[4:5]
	;; [unrolled: 1-line block ×16, first 2 shown]
	v_fma_f64 v[22:23], v[32:33], s[22:23], -v[74:75]
	v_fma_f64 v[24:25], v[32:33], s[22:23], v[74:75]
	v_fma_f64 v[50:51], v[32:33], s[0:1], -v[130:131]
	v_fma_f64 v[54:55], v[32:33], s[0:1], v[130:131]
	;; [unrolled: 2-line block ×3, first 2 shown]
	v_fma_f64 v[130:131], v[32:33], s[16:17], -v[42:43]
	v_fma_f64 v[56:57], v[32:33], s[18:19], -v[132:133]
	v_fma_f64 v[58:59], v[32:33], s[18:19], v[132:133]
	v_fma_f64 v[42:43], v[32:33], s[16:17], v[42:43]
	v_add_f64 v[0:1], v[222:223], v[0:1]
	v_fma_f64 v[132:133], v[32:33], s[6:7], -v[64:65]
	v_fma_f64 v[64:65], v[32:33], s[6:7], v[64:65]
	v_fma_f64 v[134:135], v[32:33], s[14:15], -v[126:127]
	v_fma_f64 v[126:127], v[32:33], s[14:15], v[126:127]
	;; [unrolled: 2-line block ×3, first 2 shown]
	v_add_f64 v[18:19], v[48:49], v[18:19]
	v_add_f64 v[4:5], v[28:29], v[4:5]
	;; [unrolled: 1-line block ×33, first 2 shown]
	v_add3_u32 v24, 0, v147, v146
	v_add_f64 v[0:1], v[214:215], v[0:1]
	ds_store_2addr_b64 v24, v[20:21], v[26:27] offset0:4 offset1:5
	ds_store_2addr_b64 v24, v[28:29], v[34:35] offset0:6 offset1:7
	;; [unrolled: 1-line block ×6, first 2 shown]
	ds_store_2addr_b64 v24, v[0:1], v[10:11] offset1:1
	ds_store_2addr_b64 v24, v[14:15], v[6:7] offset0:2 offset1:3
	ds_store_b64 v24, v[2:3] offset:128
.LBB0_16:
	s_or_b32 exec_lo, exec_lo, s33
	v_add_nc_u32_e32 v165, 34, v162
	v_dual_mov_b32 v49, 0 :: v_dual_lshlrev_b32 v48, 2, v162
	v_add_nc_u32_e32 v166, 51, v162
	s_waitcnt lgkmcnt(0)
	s_delay_alu instid0(VALU_DEP_3)
	v_and_b32_e32 v0, 0xff, v165
	s_barrier
	buffer_gl0_inv
	v_add_nc_u32_e32 v164, 0x44, v162
	v_and_b32_e32 v3, 0xff, v166
	v_mul_lo_u16 v2, 0xf1, v0
	v_lshlrev_b64 v[0:1], 4, v[48:49]
	s_mov_b32 s12, 0x134454ff
	v_and_b32_e32 v4, 0xff, v164
	s_mov_b32 s13, 0xbfee6f0e
	v_lshrrev_b16 v2, 12, v2
	s_mov_b32 s15, 0x3fee6f0e
	v_add_co_u32 v50, s0, s4, v0
	s_delay_alu instid0(VALU_DEP_1)
	v_add_co_ci_u32_e64 v51, s0, s5, v1, s0
	v_mul_lo_u16 v0, 0xf1, v3
	v_mul_lo_u16 v1, v2, 17
	;; [unrolled: 1-line block ×3, first 2 shown]
	s_clause 0x3
	global_load_b128 v[10:13], v[50:51], off
	global_load_b128 v[14:17], v[50:51], off offset:16
	global_load_b128 v[18:21], v[50:51], off offset:32
	;; [unrolled: 1-line block ×3, first 2 shown]
	v_lshrrev_b16 v0, 12, v0
	v_sub_nc_u16 v1, v165, v1
	v_lshrrev_b16 v2, 12, v2
	s_mov_b32 s14, s12
	s_mov_b32 s2, 0x4755a5e
	v_mul_lo_u16 v0, v0, 17
	v_and_b32_e32 v46, 0xff, v1
	v_mul_lo_u16 v1, v2, 17
	s_mov_b32 s3, 0xbfe2cf23
	s_mov_b32 s7, 0x3fe2cf23
	v_sub_nc_u16 v0, v166, v0
	v_lshlrev_b32_e32 v2, 6, v46
	v_lshlrev_b32_e32 v46, 3, v46
	s_clause 0x1
	global_load_b128 v[26:29], v2, s[4:5]
	global_load_b128 v[30:33], v2, s[4:5] offset:16
	v_and_b32_e32 v47, 0xff, v0
	v_sub_nc_u16 v0, v164, v1
	global_load_b128 v[34:37], v2, s[4:5] offset:32
	v_add3_u32 v247, 0, v46, v146
	s_mov_b32 s6, s2
	v_lshlrev_b32_e32 v1, 6, v47
	v_and_b32_e32 v48, 0xff, v0
	s_clause 0x2
	global_load_b128 v[38:41], v2, s[4:5] offset:48
	global_load_b128 v[42:45], v1, s[4:5]
	global_load_b128 v[52:55], v1, s[4:5] offset:16
	v_lshlrev_b32_e32 v155, 3, v47
	v_lshlrev_b32_e32 v0, 6, v48
	s_clause 0x5
	global_load_b128 v[56:59], v1, s[4:5] offset:32
	global_load_b128 v[64:67], v1, s[4:5] offset:48
	global_load_b128 v[72:75], v0, s[4:5]
	global_load_b128 v[120:123], v0, s[4:5] offset:16
	global_load_b128 v[124:127], v0, s[4:5] offset:32
	global_load_b128 v[128:131], v0, s[4:5] offset:48
	ds_load_b64 v[8:9], v160
	ds_load_2addr_b64 v[132:135], v161 offset0:85 offset1:102
	ds_load_2addr_b64 v[136:139], v161 offset0:153 offset1:170
	;; [unrolled: 1-line block ×12, first 2 shown]
	v_add3_u32 v248, 0, v155, v146
	v_lshlrev_b32_e32 v48, 3, v48
	s_mov_b32 s0, 0x372fe950
	s_mov_b32 s1, 0x3fd3c6ef
	s_waitcnt vmcnt(0) lgkmcnt(0)
	s_barrier
	v_add3_u32 v48, 0, v48, v146
	buffer_gl0_inv
	v_add_nc_u32_e32 v249, 0x400, v248
	v_add_nc_u32_e32 v250, 0x800, v248
	;; [unrolled: 1-line block ×3, first 2 shown]
	v_mul_f64 v[46:47], v[132:133], v[12:13]
	v_mul_f64 v[144:145], v[134:135], v[12:13]
	;; [unrolled: 1-line block ×35, first 2 shown]
	v_fma_f64 v[46:47], v[112:113], v[10:11], v[46:47]
	v_fma_f64 v[112:113], v[114:115], v[10:11], v[144:145]
	v_mul_f64 v[114:115], v[147:148], v[126:127]
	v_fma_f64 v[132:133], v[132:133], v[10:11], -v[155:156]
	v_fma_f64 v[10:11], v[134:135], v[10:11], -v[12:13]
	v_mul_f64 v[12:13], v[185:186], v[130:131]
	v_fma_f64 v[78:79], v[78:79], v[14:15], v[157:158]
	v_fma_f64 v[108:109], v[108:109], v[18:19], v[189:190]
	;; [unrolled: 1-line block ×3, first 2 shown]
	v_mul_f64 v[122:123], v[82:83], v[122:123]
	v_mul_f64 v[126:127], v[84:85], v[126:127]
	;; [unrolled: 1-line block ×3, first 2 shown]
	v_fma_f64 v[134:135], v[138:139], v[14:15], -v[187:188]
	v_fma_f64 v[138:139], v[149:150], v[22:23], -v[195:196]
	;; [unrolled: 1-line block ×3, first 2 shown]
	v_fma_f64 v[100:101], v[100:101], v[14:15], v[197:198]
	v_fma_f64 v[14:15], v[151:152], v[14:15], -v[16:17]
	v_fma_f64 v[16:17], v[110:111], v[18:19], v[199:200]
	v_fma_f64 v[18:19], v[142:143], v[18:19], -v[20:21]
	;; [unrolled: 2-line block ×12, first 2 shown]
	v_fma_f64 v[74:75], v[82:83], v[120:121], v[221:222]
	v_fma_f64 v[80:81], v[84:85], v[124:125], v[114:115]
	v_add_f64 v[88:89], v[116:117], v[46:47]
	v_add_f64 v[110:111], v[8:9], v[132:133]
	v_fma_f64 v[12:13], v[90:91], v[128:129], v[12:13]
	v_add_f64 v[104:105], v[78:79], -v[46:47]
	v_add_f64 v[90:91], v[78:79], v[108:109]
	v_add_f64 v[106:107], v[108:109], -v[86:87]
	v_fma_f64 v[76:77], v[181:182], v[120:121], -v[122:123]
	v_fma_f64 v[82:83], v[147:148], v[124:125], -v[126:127]
	;; [unrolled: 1-line block ×3, first 2 shown]
	v_add_f64 v[96:97], v[46:47], -v[78:79]
	v_add_f64 v[98:99], v[86:87], -v[108:109]
	v_add_f64 v[102:103], v[46:47], v[86:87]
	v_add_f64 v[114:115], v[134:135], v[140:141]
	v_add_f64 v[126:127], v[132:133], v[138:139]
	v_add_f64 v[128:129], v[134:135], -v[132:133]
	v_add_f64 v[130:131], v[140:141], -v[138:139]
	;; [unrolled: 1-line block ×7, first 2 shown]
	v_add_f64 v[132:133], v[68:69], v[112:113]
	v_add_f64 v[136:137], v[100:101], v[16:17]
	;; [unrolled: 1-line block ×3, first 2 shown]
	v_add_f64 v[146:147], v[112:113], -v[100:101]
	v_add_f64 v[148:149], v[20:21], -v[16:17]
	v_add_f64 v[158:159], v[14:15], v[18:19]
	v_add_f64 v[177:178], v[70:71], v[24:25]
	;; [unrolled: 1-line block ×5, first 2 shown]
	v_add_f64 v[185:186], v[24:25], -v[28:29]
	v_add_f64 v[187:188], v[36:37], -v[32:33]
	v_add_f64 v[209:210], v[60:61], v[40:41]
	v_add_f64 v[211:212], v[44:45], v[54:55]
	v_add_f64 v[156:157], v[4:5], v[10:11]
	v_add_f64 v[195:196], v[6:7], v[26:27]
	v_add_f64 v[197:198], v[30:31], v[34:35]
	v_add_f64 v[221:222], v[40:41], v[58:59]
	v_add_f64 v[243:244], v[74:75], v[80:81]
	v_add_f64 v[227:228], v[0:1], v[42:43]
	v_add_f64 v[205:206], v[26:27], v[38:39]
	v_add_f64 v[120:121], v[78:79], -v[108:109]
	v_add_f64 v[104:105], v[104:105], v[106:107]
	v_add_f64 v[106:107], v[66:67], v[12:13]
	v_add_f64 v[142:143], v[10:11], -v[22:23]
	v_add_f64 v[169:170], v[10:11], -v[14:15]
	;; [unrolled: 1-line block ×7, first 2 shown]
	v_add_f64 v[229:230], v[52:53], v[56:57]
	v_add_f64 v[237:238], v[42:43], v[64:65]
	;; [unrolled: 1-line block ×5, first 2 shown]
	v_add_f64 v[98:99], v[66:67], -v[74:75]
	v_fma_f64 v[90:91], v[90:91], -0.5, v[116:117]
	v_fma_f64 v[102:103], v[102:103], -0.5, v[116:117]
	v_add_f64 v[116:117], v[12:13], -v[80:81]
	v_fma_f64 v[114:115], v[114:115], -0.5, v[8:9]
	v_fma_f64 v[8:9], v[126:127], -0.5, v[8:9]
	v_add_f64 v[126:127], v[2:3], v[72:73]
	v_add_f64 v[128:129], v[128:129], v[130:131]
	;; [unrolled: 1-line block ×5, first 2 shown]
	v_add_f64 v[94:95], v[134:135], -v[140:141]
	v_add_f64 v[144:145], v[14:15], -v[18:19]
	;; [unrolled: 1-line block ×3, first 2 shown]
	v_add_f64 v[110:111], v[110:111], v[134:135]
	v_add_f64 v[134:135], v[74:75], -v[66:67]
	v_add_f64 v[122:123], v[122:123], v[124:125]
	v_add_f64 v[124:125], v[80:81], -v[12:13]
	v_add_f64 v[100:101], v[132:133], v[100:101]
	v_fma_f64 v[136:137], v[136:137], -0.5, v[68:69]
	v_fma_f64 v[68:69], v[150:151], -0.5, v[68:69]
	v_add_f64 v[46:47], v[46:47], -v[86:87]
	v_add_f64 v[132:133], v[72:73], -v[76:77]
	v_add_f64 v[146:147], v[146:147], v[148:149]
	v_add_f64 v[148:149], v[84:85], -v[82:83]
	v_add_f64 v[181:182], v[26:27], -v[38:39]
	;; [unrolled: 1-line block ×3, first 2 shown]
	v_fma_f64 v[150:151], v[158:159], -0.5, v[4:5]
	v_add_f64 v[28:29], v[177:178], v[28:29]
	v_fma_f64 v[158:159], v[179:180], -0.5, v[70:71]
	v_add_f64 v[183:184], v[30:31], -v[34:35]
	v_fma_f64 v[70:71], v[189:190], -0.5, v[70:71]
	v_add_f64 v[213:214], v[42:43], -v[64:65]
	v_add_f64 v[217:218], v[40:41], -v[44:45]
	;; [unrolled: 1-line block ×4, first 2 shown]
	v_fma_f64 v[4:5], v[173:174], -0.5, v[4:5]
	v_add_f64 v[173:174], v[185:186], v[187:188]
	v_add_f64 v[44:45], v[209:210], v[44:45]
	v_fma_f64 v[185:186], v[211:212], -0.5, v[60:61]
	v_add_f64 v[24:25], v[24:25], -v[36:37]
	v_add_f64 v[201:202], v[26:27], -v[30:31]
	;; [unrolled: 1-line block ×6, first 2 shown]
	v_add_f64 v[14:15], v[156:157], v[14:15]
	v_add_f64 v[156:157], v[82:83], -v[84:85]
	v_add_f64 v[30:31], v[195:196], v[30:31]
	v_fma_f64 v[177:178], v[197:198], -0.5, v[6:7]
	v_fma_f64 v[60:61], v[221:222], -0.5, v[60:61]
	;; [unrolled: 1-line block ×3, first 2 shown]
	v_add_f64 v[203:204], v[38:39], -v[34:35]
	v_add_f64 v[88:89], v[76:77], -v[82:83]
	v_fma_f64 v[62:63], v[106:107], -0.5, v[62:63]
	v_add_f64 v[112:113], v[112:113], -v[20:21]
	v_add_f64 v[233:234], v[42:43], -v[52:53]
	v_add_f64 v[42:43], v[52:53], -v[42:43]
	v_add_f64 v[52:53], v[227:228], v[52:53]
	v_fma_f64 v[6:7], v[205:206], -0.5, v[6:7]
	v_add_f64 v[40:41], v[40:41], -v[58:59]
	v_add_f64 v[66:67], v[66:67], -v[12:13]
	v_add_f64 v[169:170], v[169:170], v[171:172]
	v_add_f64 v[171:172], v[74:75], -v[80:81]
	v_add_f64 v[10:11], v[10:11], v[175:176]
	v_add_f64 v[175:176], v[191:192], v[193:194]
	v_fma_f64 v[191:192], v[229:230], -0.5, v[0:1]
	v_fma_f64 v[0:1], v[237:238], -0.5, v[0:1]
	v_add_f64 v[74:75], v[241:242], v[74:75]
	v_add_f64 v[98:99], v[98:99], v[116:117]
	;; [unrolled: 1-line block ×3, first 2 shown]
	v_fma_f64 v[116:117], v[130:131], -0.5, v[2:3]
	v_fma_f64 v[2:3], v[154:155], -0.5, v[2:3]
	v_add_f64 v[78:79], v[78:79], v[108:109]
	v_fma_f64 v[108:109], v[92:93], s[12:13], v[90:91]
	v_fma_f64 v[90:91], v[92:93], s[14:15], v[90:91]
	;; [unrolled: 1-line block ×4, first 2 shown]
	v_add_f64 v[106:107], v[134:135], v[124:125]
	v_add_f64 v[16:17], v[100:101], v[16:17]
	v_fma_f64 v[100:101], v[142:143], s[12:13], v[136:137]
	v_fma_f64 v[134:135], v[142:143], s[14:15], v[136:137]
	;; [unrolled: 1-line block ×3, first 2 shown]
	v_add_f64 v[124:125], v[132:133], v[148:149]
	v_add_f64 v[110:111], v[110:111], v[140:141]
	v_fma_f64 v[130:131], v[46:47], s[14:15], v[114:115]
	v_fma_f64 v[114:115], v[46:47], s[12:13], v[114:115]
	;; [unrolled: 1-line block ×5, first 2 shown]
	v_add_f64 v[28:29], v[28:29], v[32:33]
	v_fma_f64 v[32:33], v[181:182], s[12:13], v[158:159]
	v_fma_f64 v[154:155], v[183:184], s[14:15], v[70:71]
	;; [unrolled: 1-line block ×3, first 2 shown]
	v_add_f64 v[219:220], v[58:59], -v[54:55]
	v_add_f64 v[225:226], v[54:55], -v[58:59]
	v_add_f64 v[44:45], v[44:45], v[54:55]
	v_fma_f64 v[54:55], v[213:214], s[12:13], v[185:186]
	v_add_f64 v[207:208], v[34:35], -v[38:39]
	v_add_f64 v[72:73], v[72:73], v[156:157]
	v_add_f64 v[30:31], v[30:31], v[34:35]
	v_fma_f64 v[34:35], v[24:25], s[14:15], v[177:178]
	v_fma_f64 v[156:157], v[24:25], s[12:13], v[177:178]
	;; [unrolled: 1-line block ×5, first 2 shown]
	v_add_f64 v[179:180], v[201:202], v[203:204]
	v_fma_f64 v[201:202], v[88:89], s[14:15], v[62:63]
	v_fma_f64 v[62:63], v[88:89], s[12:13], v[62:63]
	v_add_f64 v[14:15], v[14:15], v[18:19]
	v_fma_f64 v[18:19], v[112:113], s[14:15], v[150:151]
	v_fma_f64 v[140:141], v[112:113], s[12:13], v[150:151]
	;; [unrolled: 1-line block ×4, first 2 shown]
	v_add_f64 v[235:236], v[64:65], -v[56:57]
	v_add_f64 v[239:240], v[56:57], -v[64:65]
	v_add_f64 v[52:53], v[52:53], v[56:57]
	v_fma_f64 v[56:57], v[245:246], s[14:15], v[195:196]
	v_fma_f64 v[148:149], v[167:168], s[12:13], v[4:5]
	;; [unrolled: 1-line block ×8, first 2 shown]
	v_add_f64 v[74:75], v[74:75], v[80:81]
	v_add_f64 v[76:77], v[76:77], v[82:83]
	v_fma_f64 v[80:81], v[66:67], s[14:15], v[116:117]
	v_fma_f64 v[82:83], v[66:67], s[12:13], v[116:117]
	;; [unrolled: 1-line block ×4, first 2 shown]
	v_add_f64 v[78:79], v[78:79], v[86:87]
	v_fma_f64 v[86:87], v[94:95], s[2:3], v[108:109]
	v_fma_f64 v[90:91], v[94:95], s[6:7], v[90:91]
	;; [unrolled: 1-line block ×4, first 2 shown]
	v_add_f64 v[16:17], v[16:17], v[20:21]
	v_fma_f64 v[20:21], v[144:145], s[2:3], v[100:101]
	v_fma_f64 v[100:101], v[142:143], s[2:3], v[136:137]
	v_add_f64 v[102:103], v[110:111], v[138:139]
	v_fma_f64 v[110:111], v[120:121], s[2:3], v[114:115]
	v_fma_f64 v[114:115], v[46:47], s[6:7], v[132:133]
	;; [unrolled: 1-line block ×10, first 2 shown]
	v_add_f64 v[187:188], v[217:218], v[219:220]
	v_fma_f64 v[54:55], v[215:216], s[2:3], v[54:55]
	v_add_f64 v[189:190], v[223:224], v[225:226]
	v_fma_f64 v[126:127], v[213:214], s[2:3], v[177:178]
	v_fma_f64 v[60:61], v[213:214], s[6:7], v[60:61]
	;; [unrolled: 1-line block ×13, first 2 shown]
	v_add_f64 v[26:27], v[26:27], v[207:208]
	v_fma_f64 v[112:113], v[24:25], s[6:7], v[158:159]
	v_fma_f64 v[6:7], v[24:25], s[2:3], v[6:7]
	v_add_f64 v[193:194], v[233:234], v[235:236]
	v_add_f64 v[42:43], v[42:43], v[239:240]
	;; [unrolled: 1-line block ×3, first 2 shown]
	v_fma_f64 v[36:37], v[199:200], s[2:3], v[156:157]
	v_add_f64 v[24:25], v[44:45], v[58:59]
	v_fma_f64 v[44:45], v[231:232], s[6:7], v[195:196]
	v_fma_f64 v[140:141], v[40:41], s[6:7], v[203:204]
	;; [unrolled: 1-line block ×7, first 2 shown]
	v_add_f64 v[12:13], v[74:75], v[12:13]
	v_fma_f64 v[74:75], v[171:172], s[2:3], v[82:83]
	v_fma_f64 v[82:83], v[96:97], s[0:1], v[90:91]
	;; [unrolled: 1-line block ×21, first 2 shown]
	v_add_f64 v[52:53], v[52:53], v[64:65]
	v_add_f64 v[64:65], v[76:77], v[84:85]
	v_fma_f64 v[76:77], v[122:123], s[0:1], v[108:109]
	v_fma_f64 v[84:85], v[122:123], s[0:1], v[110:111]
	v_fma_f64 v[108:109], v[128:129], s[0:1], v[114:115]
	v_fma_f64 v[110:111], v[128:129], s[0:1], v[8:9]
	v_add_f64 v[98:99], v[14:15], v[22:23]
	v_fma_f64 v[114:115], v[169:170], s[0:1], v[18:19]
	v_fma_f64 v[122:123], v[10:11], s[0:1], v[138:139]
	v_fma_f64 v[88:89], v[169:170], s[0:1], v[88:89]
	v_fma_f64 v[126:127], v[10:11], s[0:1], v[4:5]
	;; [unrolled: 5-line block ×3, first 2 shown]
	v_fma_f64 v[134:135], v[193:194], s[0:1], v[44:45]
	v_fma_f64 v[136:137], v[42:43], s[0:1], v[140:141]
	;; [unrolled: 1-line block ×6, first 2 shown]
	ds_store_2addr_b64 v161, v[78:79], v[66:67] offset1:17
	ds_store_2addr_b64 v161, v[86:87], v[90:91] offset0:34 offset1:51
	ds_store_2addr_b64 v161, v[82:83], v[16:17] offset0:68 offset1:85
	;; [unrolled: 1-line block ×10, first 2 shown]
	ds_store_b64 v247, v[106:107] offset:1904
	ds_store_b64 v248, v[116:117] offset:2584
	;; [unrolled: 1-line block ×3, first 2 shown]
	s_waitcnt lgkmcnt(0)
	s_barrier
	buffer_gl0_inv
	ds_load_b64 v[158:159], v160
	ds_load_2addr_b64 v[8:11], v161 offset0:85 offset1:102
	ds_load_2addr_b64 v[40:43], v161 offset0:153 offset1:170
	;; [unrolled: 1-line block ×12, first 2 shown]
	v_fma_f64 v[58:59], v[193:194], s[0:1], v[58:59]
	v_fma_f64 v[74:75], v[124:125], s[0:1], v[74:75]
	s_waitcnt lgkmcnt(0)
	s_barrier
	buffer_gl0_inv
	ds_store_2addr_b64 v161, v[102:103], v[76:77] offset1:17
	ds_store_2addr_b64 v161, v[108:109], v[110:111] offset0:34 offset1:51
	ds_store_2addr_b64 v161, v[84:85], v[98:99] offset0:68 offset1:85
	ds_store_2addr_b64 v161, v[114:115], v[122:123] offset0:102 offset1:119
	ds_store_2addr_b64 v161, v[126:127], v[88:89] offset0:136 offset1:153
	ds_store_2addr_b64 v247, v[120:121], v[128:129] offset0:170 offset1:187
	ds_store_2addr_b64 v247, v[112:113], v[132:133] offset0:204 offset1:221
	ds_store_2addr_b64 v249, v[52:53], v[134:135] offset0:127 offset1:144
	ds_store_2addr_b64 v250, v[136:137], v[138:139] offset0:33 offset1:50
	ds_store_2addr_b64 v251, v[64:65], v[140:141] offset0:84 offset1:101
	ds_store_2addr_b64 v251, v[80:81], v[72:73] offset0:118 offset1:135
	ds_store_b64 v247, v[130:131] offset:1904
	ds_store_b64 v248, v[58:59] offset:2584
	;; [unrolled: 1-line block ×3, first 2 shown]
	s_waitcnt lgkmcnt(0)
	s_barrier
	buffer_gl0_inv
	s_and_saveexec_b32 s16, vcc_lo
	s_cbranch_execz .LBB0_18
; %bb.17:
	v_add_nc_u32_e32 v214, 0x66, v162
	global_load_b128 v[144:147], v[50:51], off offset:1136
	v_add_nc_u32_e32 v212, 0xff, v162
	v_mul_hi_u32 v207, 0xc0c0c0c1, v165
	v_add_nc_u32_e32 v210, 0x55, v162
	v_mad_u64_u32 v[199:200], null, s8, v214, 0
	v_lshlrev_b32_e32 v48, 2, v164
	v_mad_u64_u32 v[195:196], null, s8, v212, 0
	v_add_nc_u32_e32 v211, 0xaa, v162
	v_lshrrev_b32_e32 v218, 6, v207
	s_delay_alu instid0(VALU_DEP_4) | instskip(SKIP_3) | instid1(VALU_DEP_4)
	v_lshlrev_b64 v[52:53], 4, v[48:49]
	v_lshlrev_b32_e32 v48, 2, v166
	v_mad_u64_u32 v[187:188], null, s8, v162, 0
	v_mad_u64_u32 v[189:190], null, s8, v163, 0
	v_add_co_u32 v52, vcc_lo, s4, v52
	v_add_co_ci_u32_e32 v53, vcc_lo, s5, v53, vcc_lo
	v_lshlrev_b64 v[54:55], 4, v[48:49]
	s_clause 0x4
	global_load_b128 v[136:139], v[52:53], off offset:1120
	global_load_b128 v[140:143], v[50:51], off offset:1104
	;; [unrolled: 1-line block ×5, first 2 shown]
	v_add_co_u32 v50, vcc_lo, s4, v54
	v_add_co_ci_u32_e32 v51, vcc_lo, s5, v55, vcc_lo
	s_clause 0x1
	global_load_b128 v[108:111], v[52:53], off offset:1136
	global_load_b128 v[124:127], v[52:53], off offset:1104
	v_mul_hi_u32 v208, 0xc0c0c0c1, v166
	v_mad_u64_u32 v[191:192], null, s8, v210, 0
	s_clause 0x3
	global_load_b128 v[84:87], v[50:51], off offset:1104
	global_load_b128 v[88:91], v[50:51], off offset:1088
	;; [unrolled: 1-line block ×4, first 2 shown]
	v_mad_u64_u32 v[193:194], null, s8, v211, 0
	v_mad_u32_u24 v228, 0x154, v218, v165
	v_add_nc_u32_e32 v179, 0x800, v161
	v_add_nc_u32_e32 v183, 0x400, v161
	;; [unrolled: 1-line block ×3, first 2 shown]
	v_lshrrev_b32_e32 v219, 6, v208
	v_mad_u64_u32 v[207:208], null, s9, v162, v[188:189]
	v_mov_b32_e32 v188, v192
	v_mov_b32_e32 v192, v194
	v_add_nc_u32_e32 v232, 0x154, v228
	v_lshlrev_b32_e32 v48, 2, v165
	v_mad_u64_u32 v[208:209], null, s9, v163, v[190:191]
	v_add_nc_u32_e32 v213, 0x154, v162
	v_add_nc_u32_e32 v215, 0xbb, v162
	v_mad_u64_u32 v[203:204], null, s8, v216, 0
	v_dual_mov_b32 v194, v196 :: v_dual_add_nc_u32 v217, 0x165, v162
	v_mad_u32_u24 v162, 0x154, v219, v166
	v_mad_u64_u32 v[165:166], null, s9, v210, v[188:189]
	v_mad_u64_u32 v[209:210], null, s9, v211, v[192:193]
	;; [unrolled: 1-line block ×3, first 2 shown]
	v_lshlrev_b64 v[52:53], 4, v[48:49]
	v_lshlrev_b32_e32 v48, 2, v163
	v_mad_u64_u32 v[210:211], null, s9, v212, v[194:195]
	v_mov_b32_e32 v194, v209
	v_mad_u64_u32 v[197:198], null, s8, v213, 0
	v_mov_b32_e32 v209, v225
	v_lshlrev_b64 v[48:49], 4, v[48:49]
	v_add_co_u32 v50, vcc_lo, s4, v52
	v_add_co_ci_u32_e32 v51, vcc_lo, s5, v53, vcc_lo
	s_clause 0x3
	global_load_b128 v[92:95], v[50:51], off offset:1104
	global_load_b128 v[72:75], v[50:51], off offset:1088
	;; [unrolled: 1-line block ×4, first 2 shown]
	v_add_co_u32 v48, vcc_lo, s4, v48
	v_add_co_ci_u32_e32 v49, vcc_lo, s5, v49, vcc_lo
	s_clause 0x3
	global_load_b128 v[64:67], v[48:49], off offset:1104
	global_load_b128 v[56:59], v[48:49], off offset:1088
	;; [unrolled: 1-line block ×4, first 2 shown]
	ds_load_2addr_b64 v[148:151], v161 offset0:221 offset1:238
	ds_load_2addr_b64 v[152:155], v161 offset0:153 offset1:170
	;; [unrolled: 1-line block ×7, first 2 shown]
	scratch_load_b64 v[156:157], off, off offset:160 ; 8-byte Folded Reload
	v_mad_u64_u32 v[201:202], null, s8, v215, 0
	v_mov_b32_e32 v196, v198
	v_mov_b32_e32 v198, v204
	v_mad_u64_u32 v[205:206], null, s8, v217, 0
	v_mov_b32_e32 v163, v200
	s_delay_alu instid0(VALU_DEP_4) | instskip(SKIP_1) | instid1(VALU_DEP_3)
	v_mad_u64_u32 v[211:212], null, s9, v213, v[196:197]
	v_dual_mov_b32 v190, v202 :: v_dual_add_nc_u32 v229, 0x55, v228
	v_mad_u64_u32 v[212:213], null, s9, v214, v[163:164]
	v_mov_b32_e32 v200, v206
	s_delay_alu instid0(VALU_DEP_3) | instskip(SKIP_1) | instid1(VALU_DEP_3)
	v_mad_u64_u32 v[213:214], null, s9, v215, v[190:191]
	v_mad_u64_u32 v[214:215], null, s9, v216, v[198:199]
	;; [unrolled: 1-line block ×4, first 2 shown]
	v_dual_mov_b32 v188, v207 :: v_dual_add_nc_u32 v231, 0xff, v228
	v_mov_b32_e32 v190, v208
	v_mad_u64_u32 v[207:208], null, s8, v229, 0
	v_add_nc_u32_e32 v230, 0xaa, v228
	v_mov_b32_e32 v192, v165
	v_mov_b32_e32 v196, v210
	;; [unrolled: 1-line block ×6, first 2 shown]
	v_dual_mov_b32 v206, v215 :: v_dual_mov_b32 v163, v217
	ds_load_b64 v[160:161], v160
	ds_load_2addr_b64 v[167:170], v179 offset0:67 offset1:84
	ds_load_2addr_b64 v[171:174], v179 offset0:135 offset1:152
	ds_load_2addr_b64 v[175:178], v179 offset0:33 offset1:50
	ds_load_2addr_b64 v[179:182], v179 offset0:101 offset1:118
	ds_load_2addr_b64 v[183:186], v183 offset0:127 offset1:144
	v_mad_u64_u32 v[220:221], null, s8, v230, 0
	v_mad_u64_u32 v[222:223], null, s8, v231, 0
	v_lshlrev_b64 v[165:166], 4, v[189:190]
	v_lshlrev_b64 v[189:190], 4, v[191:192]
	;; [unrolled: 1-line block ×9, first 2 shown]
	v_mad_u64_u32 v[205:206], null, s9, v228, v[163:164]
	v_dual_mov_b32 v163, v208 :: v_dual_mov_b32 v206, v221
	v_mov_b32_e32 v208, v223
	v_lshlrev_b64 v[187:188], 4, v[187:188]
	v_mad_u64_u32 v[218:219], null, s8, v162, 0
	s_delay_alu instid0(VALU_DEP_4) | instskip(SKIP_3) | instid1(VALU_DEP_4)
	v_mad_u64_u32 v[210:211], null, s9, v229, v[163:164]
	v_mad_u64_u32 v[211:212], null, s9, v230, v[206:207]
	;; [unrolled: 1-line block ×3, first 2 shown]
	v_mov_b32_e32 v217, v205
	v_mad_u64_u32 v[213:214], null, s9, v232, v[209:210]
	s_delay_alu instid0(VALU_DEP_4) | instskip(NEXT) | instid1(VALU_DEP_4)
	v_dual_mov_b32 v208, v210 :: v_dual_mov_b32 v221, v211
	v_mov_b32_e32 v223, v212
	s_delay_alu instid0(VALU_DEP_3)
	v_mov_b32_e32 v225, v213
	s_waitcnt vmcnt(20)
	v_mul_f64 v[214:215], v[46:47], v[146:147]
	s_waitcnt lgkmcnt(4)
	v_mul_f64 v[146:147], v[169:170], v[146:147]
	s_waitcnt vmcnt(19)
	v_mul_f64 v[228:229], v[44:45], v[138:139]
	v_mul_f64 v[138:139], v[167:168], v[138:139]
	s_waitcnt vmcnt(18)
	v_mul_f64 v[230:231], v[42:43], v[142:143]
	;; [unrolled: 3-line block ×4, first 2 shown]
	s_waitcnt lgkmcnt(0)
	v_mul_f64 v[118:119], v[183:184], v[118:119]
	s_waitcnt vmcnt(15)
	v_mul_f64 v[205:206], v[8:9], v[122:123]
	v_mul_f64 v[122:123], v[112:113], v[122:123]
	s_waitcnt vmcnt(13)
	v_mul_f64 v[209:210], v[38:39], v[126:127]
	v_mul_f64 v[126:127], v[150:151], v[126:127]
	;; [unrolled: 1-line block ×4, first 2 shown]
	v_fma_f64 v[169:170], v[169:170], v[144:145], -v[214:215]
	v_fma_f64 v[46:47], v[46:47], v[144:145], v[146:147]
	s_waitcnt vmcnt(12)
	v_mul_f64 v[145:146], v[36:37], v[86:87]
	v_lshlrev_b64 v[213:214], 4, v[216:217]
	s_waitcnt vmcnt(11)
	v_mul_f64 v[215:216], v[26:27], v[90:91]
	v_mul_f64 v[90:91], v[130:131], v[90:91]
	;; [unrolled: 1-line block ×3, first 2 shown]
	v_mov_b32_e32 v144, v219
	v_fma_f64 v[167:168], v[167:168], v[136:137], -v[228:229]
	s_waitcnt vmcnt(9)
	v_mul_f64 v[228:229], v[30:31], v[102:103]
	v_fma_f64 v[44:45], v[44:45], v[136:137], v[138:139]
	v_mul_f64 v[136:137], v[32:33], v[82:83]
	v_mul_f64 v[82:83], v[171:172], v[82:83]
	;; [unrolled: 1-line block ×3, first 2 shown]
	v_fma_f64 v[138:139], v[154:155], v[140:141], -v[230:231]
	v_fma_f64 v[42:43], v[42:43], v[140:141], v[142:143]
	v_fma_f64 v[142:143], v[152:153], v[132:133], -v[232:233]
	v_fma_f64 v[40:41], v[40:41], v[132:133], v[134:135]
	;; [unrolled: 2-line block ×6, first 2 shown]
	s_waitcnt vmcnt(8)
	v_mul_f64 v[140:141], v[22:23], v[94:95]
	s_waitcnt vmcnt(7)
	v_mul_f64 v[152:153], v[24:25], v[74:75]
	;; [unrolled: 2-line block ×4, first 2 shown]
	v_mul_f64 v[94:95], v[106:107], v[94:95]
	v_mul_f64 v[98:99], v[175:176], v[98:99]
	;; [unrolled: 1-line block ×4, first 2 shown]
	s_waitcnt vmcnt(4)
	v_mul_f64 v[116:117], v[20:21], v[66:67]
	s_waitcnt vmcnt(3)
	v_mul_f64 v[118:119], v[10:11], v[58:59]
	s_waitcnt vmcnt(2)
	v_mul_f64 v[120:121], v[14:15], v[78:79]
	s_waitcnt vmcnt(1)
	v_mul_f64 v[124:125], v[16:17], v[62:63]
	v_mul_f64 v[66:67], v[104:105], v[66:67]
	v_mul_f64 v[34:35], v[185:186], v[78:79]
	;; [unrolled: 1-line block ×3, first 2 shown]
	v_fma_f64 v[78:79], v[148:149], v[84:85], -v[145:146]
	v_mul_f64 v[62:63], v[179:180], v[62:63]
	v_fma_f64 v[130:131], v[130:131], v[88:89], -v[215:216]
	v_fma_f64 v[26:27], v[26:27], v[88:89], v[90:91]
	v_fma_f64 v[36:37], v[36:37], v[84:85], v[86:87]
	s_waitcnt vmcnt(0)
	v_add_co_u32 v156, vcc_lo, s10, v156
	v_fma_f64 v[173:174], v[177:178], v[100:101], -v[228:229]
	v_fma_f64 v[136:137], v[171:172], v[80:81], -v[136:137]
	v_fma_f64 v[80:81], v[32:33], v[80:81], v[82:83]
	v_fma_f64 v[30:31], v[30:31], v[100:101], v[102:103]
	v_add_co_ci_u32_e32 v157, vcc_lo, s11, v157, vcc_lo
	v_add_co_u32 v187, vcc_lo, v156, v187
	v_lshlrev_b64 v[110:111], 4, v[207:208]
	v_add_f64 v[102:103], v[46:47], -v[12:13]
	v_add_f64 v[88:89], v[112:113], v[160:161]
	v_add_f64 v[90:91], v[42:43], -v[8:9]
	v_add_f64 v[100:101], v[8:9], -v[42:43]
	;; [unrolled: 1-line block ×3, first 2 shown]
	v_add_co_ci_u32_e32 v188, vcc_lo, v157, v188, vcc_lo
	v_fma_f64 v[32:33], v[106:107], v[92:93], -v[140:141]
	v_fma_f64 v[82:83], v[128:129], v[72:73], -v[152:153]
	;; [unrolled: 1-line block ×4, first 2 shown]
	v_fma_f64 v[22:23], v[22:23], v[92:93], v[94:95]
	v_fma_f64 v[28:29], v[28:29], v[96:97], v[98:99]
	;; [unrolled: 1-line block ×4, first 2 shown]
	v_fma_f64 v[68:69], v[104:105], v[64:65], -v[116:117]
	v_fma_f64 v[70:71], v[114:115], v[56:57], -v[118:119]
	;; [unrolled: 1-line block ×4, first 2 shown]
	v_fma_f64 v[20:21], v[20:21], v[64:65], v[66:67]
	v_fma_f64 v[14:15], v[14:15], v[76:77], v[34:35]
	v_fma_f64 v[10:11], v[10:11], v[56:57], v[58:59]
	v_add_f64 v[34:35], v[138:139], -v[112:113]
	v_fma_f64 v[16:17], v[16:17], v[60:61], v[62:63]
	v_add_f64 v[56:57], v[134:135], -v[169:170]
	v_add_f64 v[60:61], v[112:113], v[169:170]
	v_add_f64 v[64:65], v[112:113], -v[138:139]
	v_add_f64 v[66:67], v[169:170], -v[134:135]
	v_add_f64 v[76:77], v[138:139], v[134:135]
	v_add_f64 v[92:93], v[12:13], -v[46:47]
	v_add_f64 v[116:117], v[142:143], v[126:127]
	v_add_f64 v[118:119], v[122:123], v[167:168]
	v_add_f64 v[120:121], v[130:131], v[136:137]
	v_add_f64 v[124:125], v[78:79], v[173:174]
	v_add_f64 v[185:186], v[108:109], -v[44:45]
	v_add_f64 v[132:133], v[142:143], -v[122:123]
	;; [unrolled: 1-line block ×3, first 2 shown]
	v_add_f64 v[140:141], v[40:41], v[108:109]
	v_add_f64 v[151:152], v[38:39], v[44:45]
	;; [unrolled: 1-line block ×3, first 2 shown]
	v_add_co_u32 v165, vcc_lo, v156, v165
	v_add_co_ci_u32_e32 v166, vcc_lo, v157, v166, vcc_lo
	v_add_co_u32 v189, vcc_lo, v156, v189
	v_add_co_ci_u32_e32 v190, vcc_lo, v157, v190, vcc_lo
	;; [unrolled: 2-line block ×8, first 2 shown]
	v_add_co_u32 v203, vcc_lo, v156, v203
	v_add_f64 v[62:63], v[8:9], -v[46:47]
	v_add_f64 v[94:95], v[112:113], -v[169:170]
	v_add_f64 v[96:97], v[8:9], v[46:47]
	v_add_f64 v[104:105], v[42:43], v[12:13]
	;; [unrolled: 1-line block ×3, first 2 shown]
	v_add_f64 v[106:107], v[122:123], -v[142:143]
	v_add_f64 v[112:113], v[167:168], -v[126:127]
	;; [unrolled: 1-line block ×3, first 2 shown]
	v_add_f64 v[171:172], v[36:37], v[30:31]
	v_add_f64 v[179:180], v[38:39], -v[40:41]
	v_add_f64 v[181:182], v[44:45], -v[108:109]
	v_add_f64 v[40:41], v[6:7], v[40:41]
	v_add_f64 v[205:206], v[78:79], -v[130:131]
	v_add_f64 v[207:208], v[173:174], -v[136:137]
	v_add_co_ci_u32_e32 v204, vcc_lo, v157, v204, vcc_lo
	v_add_co_u32 v149, vcc_lo, v156, v213
	v_add_co_ci_u32_e32 v150, vcc_lo, v157, v214, vcc_lo
	v_add_f64 v[98:99], v[138:139], -v[134:135]
	v_add_f64 v[177:178], v[142:143], v[54:55]
	v_add_f64 v[213:214], v[130:131], v[52:53]
	v_fma_f64 v[116:117], v[116:117], -0.5, v[54:55]
	v_fma_f64 v[54:55], v[118:119], -0.5, v[54:55]
	;; [unrolled: 1-line block ×4, first 2 shown]
	v_add_f64 v[120:121], v[24:25], -v[22:23]
	v_add_f64 v[124:125], v[18:19], -v[28:29]
	v_add_f64 v[34:35], v[34:35], v[56:57]
	v_add_f64 v[56:57], v[68:69], -v[70:71]
	v_add_f64 v[64:65], v[64:65], v[66:67]
	v_add_f64 v[66:67], v[72:73], -v[74:75]
	v_fma_f64 v[60:61], v[60:61], -0.5, v[160:161]
	v_fma_f64 v[76:77], v[76:77], -0.5, v[160:161]
	v_add_f64 v[160:161], v[70:71], v[74:75]
	v_add_f64 v[88:89], v[138:139], v[88:89]
	v_add_f64 v[138:139], v[70:71], -v[68:69]
	v_add_f64 v[90:91], v[90:91], v[92:93]
	v_add_f64 v[92:93], v[74:75], -v[72:73]
	v_add_f64 v[100:101], v[100:101], v[102:103]
	v_add_f64 v[102:103], v[68:69], v[72:73]
	;; [unrolled: 1-line block ×4, first 2 shown]
	v_lshlrev_b64 v[145:146], 4, v[220:221]
	v_lshlrev_b64 v[147:148], 4, v[222:223]
	v_add_f64 v[209:210], v[130:131], -v[78:79]
	v_add_f64 v[211:212], v[136:137], -v[173:174]
	v_add_f64 v[215:216], v[36:37], -v[26:27]
	v_add_f64 v[219:220], v[30:31], -v[80:81]
	v_add_f64 v[221:222], v[26:27], -v[36:37]
	v_add_f64 v[228:229], v[80:81], -v[30:31]
	v_add_f64 v[230:231], v[4:5], v[26:27]
	v_add_f64 v[232:233], v[32:33], -v[82:83]
	v_add_f64 v[234:235], v[84:85], -v[86:87]
	v_add_f64 v[236:237], v[82:83], v[86:87]
	v_add_f64 v[242:243], v[32:33], v[84:85]
	;; [unrolled: 1-line block ×6, first 2 shown]
	v_fma_f64 v[140:141], v[140:141], -0.5, v[6:7]
	v_fma_f64 v[6:7], v[151:152], -0.5, v[6:7]
	;; [unrolled: 1-line block ×3, first 2 shown]
	v_add_f64 v[153:154], v[22:23], v[28:29]
	v_add_f64 v[58:59], v[42:43], -v[12:13]
	v_add_f64 v[114:115], v[38:39], -v[44:45]
	v_fma_f64 v[4:5], v[171:172], -0.5, v[4:5]
	v_add_f64 v[171:172], v[2:3], v[24:25]
	v_fma_f64 v[96:97], v[96:97], -0.5, v[158:159]
	v_fma_f64 v[104:105], v[104:105], -0.5, v[158:159]
	v_add_f64 v[158:159], v[70:71], v[48:49]
	v_add_f64 v[8:9], v[42:43], v[8:9]
	v_add_f64 v[42:43], v[20:21], -v[10:11]
	v_add_f64 v[106:107], v[106:107], v[112:113]
	v_add_f64 v[112:113], v[14:15], -v[16:17]
	;; [unrolled: 2-line block ×4, first 2 shown]
	v_add_f64 v[205:206], v[205:206], v[207:208]
	v_add_f64 v[207:208], v[0:1], v[10:11]
	v_add_f64 v[10:11], v[10:11], -v[16:17]
	v_add_f64 v[70:71], v[70:71], -v[74:75]
	v_add_f64 v[120:121], v[120:121], v[124:125]
	v_fma_f64 v[124:125], v[160:161], -0.5, v[48:49]
	v_add_f64 v[56:57], v[56:57], v[66:67]
	v_fma_f64 v[48:49], v[102:103], -0.5, v[48:49]
	;; [unrolled: 2-line block ×3, first 2 shown]
	v_add_f64 v[142:143], v[142:143], -v[126:127]
	v_add_f64 v[177:178], v[122:123], v[177:178]
	v_add_f64 v[122:123], v[122:123], -v[167:168]
	v_add_f64 v[209:210], v[209:210], v[211:212]
	;; [unrolled: 2-line block ×3, first 2 shown]
	v_add_f64 v[215:216], v[215:216], v[219:220]
	v_add_f64 v[219:220], v[22:23], -v[28:29]
	v_add_f64 v[221:222], v[221:222], v[228:229]
	v_add_f64 v[228:229], v[32:33], -v[84:85]
	;; [unrolled: 2-line block ×4, first 2 shown]
	v_fma_f64 v[236:237], v[236:237], -0.5, v[50:51]
	v_fma_f64 v[50:51], v[242:243], -0.5, v[50:51]
	;; [unrolled: 1-line block ×4, first 2 shown]
	v_add_f64 v[238:239], v[82:83], -v[32:33]
	v_add_f64 v[32:33], v[32:33], v[244:245]
	v_add_f64 v[240:241], v[86:87], -v[84:85]
	v_add_f64 v[246:247], v[22:23], -v[24:25]
	v_add_f64 v[248:249], v[28:29], -v[18:19]
	v_add_f64 v[24:25], v[24:25], -v[18:19]
	v_add_f64 v[82:83], v[82:83], -v[86:87]
	v_fma_f64 v[2:3], v[153:154], -0.5, v[2:3]
	v_add_f64 v[130:131], v[130:131], -v[136:137]
	v_add_f64 v[78:79], v[78:79], -v[173:174]
	v_add_f64 v[22:23], v[22:23], v[171:172]
	v_add_f64 v[68:69], v[68:69], v[158:159]
	v_add_f64 v[102:103], v[42:43], v[112:113]
	v_add_f64 v[112:113], v[181:182], v[40:41]
	v_add_f64 v[20:21], v[20:21], v[207:208]
	v_fma_f64 v[40:41], v[58:59], s[14:15], v[60:61]
	v_fma_f64 v[42:43], v[58:59], s[12:13], v[60:61]
	;; [unrolled: 1-line block ×6, first 2 shown]
	v_add_f64 v[88:89], v[134:135], v[88:89]
	v_fma_f64 v[134:135], v[98:99], s[12:13], v[96:97]
	v_fma_f64 v[96:97], v[98:99], s[14:15], v[96:97]
	v_add_f64 v[8:9], v[8:9], v[12:13]
	v_fma_f64 v[12:13], v[114:115], s[14:15], v[116:117]
	v_fma_f64 v[116:117], v[114:115], s[12:13], v[116:117]
	;; [unrolled: 1-line block ×7, first 2 shown]
	v_add_f64 v[158:159], v[167:168], v[177:178]
	v_fma_f64 v[160:161], v[122:123], s[12:13], v[140:141]
	v_fma_f64 v[167:168], v[142:143], s[14:15], v[6:7]
	v_add_f64 v[173:174], v[173:174], v[213:214]
	v_fma_f64 v[181:182], v[230:231], s[14:15], v[124:125]
	v_fma_f64 v[124:125], v[230:231], s[12:13], v[124:125]
	;; [unrolled: 1-line block ×3, first 2 shown]
	v_add_f64 v[250:251], v[36:37], v[30:31]
	v_fma_f64 v[30:31], v[219:220], s[14:15], v[236:237]
	v_fma_f64 v[36:37], v[219:220], s[12:13], v[236:237]
	;; [unrolled: 1-line block ×4, first 2 shown]
	v_add_f64 v[32:33], v[84:85], v[32:33]
	v_fma_f64 v[84:85], v[228:229], s[12:13], v[242:243]
	v_fma_f64 v[92:93], v[70:71], s[14:15], v[92:93]
	v_add_f64 v[238:239], v[238:239], v[240:241]
	v_add_f64 v[240:241], v[246:247], v[248:249]
	v_fma_f64 v[246:247], v[24:25], s[14:15], v[50:51]
	v_fma_f64 v[248:249], v[82:83], s[12:13], v[2:3]
	v_add_f64 v[26:27], v[26:27], -v[80:81]
	v_fma_f64 v[6:7], v[142:143], s[12:13], v[6:7]
	v_fma_f64 v[175:176], v[78:79], s[12:13], v[151:152]
	;; [unrolled: 1-line block ×8, first 2 shown]
	v_add_f64 v[171:172], v[38:39], v[44:45]
	v_fma_f64 v[38:39], v[211:212], s[14:15], v[118:119]
	v_fma_f64 v[44:45], v[211:212], s[12:13], v[118:119]
	v_add_f64 v[22:23], v[22:23], v[28:29]
	v_add_f64 v[28:29], v[72:73], v[68:69]
	;; [unrolled: 1-line block ×3, first 2 shown]
	v_fma_f64 v[20:21], v[62:63], s[2:3], v[40:41]
	v_fma_f64 v[40:41], v[62:63], s[6:7], v[42:43]
	;; [unrolled: 1-line block ×8, first 2 shown]
	v_add_f64 v[2:3], v[169:170], v[88:89]
	v_fma_f64 v[88:89], v[128:129], s[6:7], v[116:117]
	v_fma_f64 v[48:49], v[230:231], s[6:7], v[48:49]
	;; [unrolled: 1-line block ×3, first 2 shown]
	v_add_f64 v[0:1], v[8:9], v[46:47]
	v_fma_f64 v[96:97], v[114:115], s[6:7], v[54:55]
	v_fma_f64 v[98:99], v[142:143], s[6:7], v[160:161]
	;; [unrolled: 1-line block ×25, first 2 shown]
	v_add_f64 v[6:7], v[86:87], v[32:33]
	v_fma_f64 v[86:87], v[228:229], s[6:7], v[242:243]
	v_fma_f64 v[104:105], v[142:143], s[2:3], v[140:141]
	v_fma_f64 v[140:141], v[26:27], s[2:3], v[38:39]
	v_fma_f64 v[142:143], v[26:27], s[6:7], v[44:45]
	v_fma_f64 v[26:27], v[64:65], s[0:1], v[58:59]
	v_fma_f64 v[24:25], v[100:101], s[0:1], v[72:73]
	v_add_f64 v[4:5], v[22:23], v[18:19]
	v_add_f64 v[8:9], v[14:15], v[16:17]
	v_fma_f64 v[18:19], v[34:35], s[0:1], v[40:41]
	v_fma_f64 v[16:17], v[90:91], s[0:1], v[62:63]
	;; [unrolled: 1-line block ×6, first 2 shown]
	v_add_f64 v[10:11], v[74:75], v[28:29]
	v_fma_f64 v[42:43], v[66:67], s[0:1], v[48:49]
	v_fma_f64 v[40:41], v[112:113], s[0:1], v[116:117]
	;; [unrolled: 1-line block ×8, first 2 shown]
	global_store_b128 v[187:188], v[0:3], off
	v_fma_f64 v[2:3], v[232:233], s[0:1], v[153:154]
	v_fma_f64 v[0:1], v[240:241], s[0:1], v[82:83]
	;; [unrolled: 1-line block ×7, first 2 shown]
	v_add_co_u32 v110, vcc_lo, v156, v110
	v_add_co_ci_u32_e32 v111, vcc_lo, v157, v111, vcc_lo
	v_add_co_u32 v145, vcc_lo, v156, v145
	v_fma_f64 v[62:63], v[106:107], s[0:1], v[76:77]
	v_fma_f64 v[78:79], v[238:239], s[0:1], v[78:79]
	;; [unrolled: 1-line block ×3, first 2 shown]
	v_add_co_ci_u32_e32 v146, vcc_lo, v157, v146, vcc_lo
	s_clause 0xa
	global_store_b128 v[189:190], v[24:27], off
	global_store_b128 v[191:192], v[16:19], off
	;; [unrolled: 1-line block ×11, first 2 shown]
	v_add_co_u32 v4, vcc_lo, v156, v147
	v_lshlrev_b64 v[6:7], 4, v[224:225]
	v_add_co_ci_u32_e32 v5, vcc_lo, v157, v148, vcc_lo
	v_add_nc_u32_e32 v13, 0xff, v162
	s_clause 0x1
	global_store_b128 v[145:146], v[56:59], off
	global_store_b128 v[4:5], v[0:3], off
	v_add_co_u32 v1, vcc_lo, v156, v6
	v_add_co_ci_u32_e32 v2, vcc_lo, v157, v7, vcc_lo
	v_mad_u64_u32 v[6:7], null, s8, v13, 0
	v_add_nc_u32_e32 v252, 0x55, v162
	v_add_f64 v[54:55], v[136:137], v[173:174]
	v_add_f64 v[52:53], v[250:251], v[80:81]
	v_fma_f64 v[118:119], v[211:212], s[2:3], v[118:119]
	v_fma_f64 v[70:71], v[132:133], s[0:1], v[94:95]
	v_mad_u64_u32 v[226:227], null, s8, v252, 0
	v_fma_f64 v[94:95], v[209:210], s[0:1], v[84:85]
	v_fma_f64 v[92:93], v[221:222], s[0:1], v[175:176]
	v_add_nc_u32_e32 v12, 0xaa, v162
	v_mad_u64_u32 v[8:9], null, s9, v162, v[144:145]
	v_fma_f64 v[86:87], v[205:206], s[0:1], v[142:143]
	v_mov_b32_e32 v0, v227
	v_fma_f64 v[84:85], v[215:216], s[0:1], v[130:131]
	global_store_b128 v[1:2], v[76:79], off
	v_fma_f64 v[82:83], v[205:206], s[0:1], v[140:141]
	v_fma_f64 v[80:81], v[215:216], s[0:1], v[169:170]
	v_mad_u64_u32 v[3:4], null, s9, v252, v[0:1]
	v_mad_u64_u32 v[4:5], null, s8, v12, 0
	v_dual_mov_b32 v219, v8 :: v_dual_add_nc_u32 v14, 0x154, v162
	v_fma_f64 v[66:67], v[106:107], s[0:1], v[88:89]
	v_fma_f64 v[88:89], v[221:222], s[0:1], v[151:152]
	v_mov_b32_e32 v227, v3
	v_dual_mov_b32 v3, v7 :: v_dual_mov_b32 v2, v5
	v_lshlrev_b64 v[0:1], 4, v[218:219]
	v_add_f64 v[50:51], v[126:127], v[158:159]
	s_delay_alu instid0(VALU_DEP_4)
	v_lshlrev_b64 v[8:9], 4, v[226:227]
	v_add_f64 v[48:49], v[171:172], v[108:109]
	v_mad_u64_u32 v[10:11], null, s9, v12, v[2:3]
	v_mad_u64_u32 v[11:12], null, s9, v13, v[3:4]
	;; [unrolled: 1-line block ×3, first 2 shown]
	v_add_co_u32 v0, vcc_lo, v156, v0
	v_add_co_ci_u32_e32 v1, vcc_lo, v157, v1, vcc_lo
	v_add_co_u32 v8, vcc_lo, v156, v8
	v_mov_b32_e32 v5, v10
	v_mul_hi_u32 v10, 0xc0c0c0c1, v164
	v_add_co_ci_u32_e32 v9, vcc_lo, v157, v9, vcc_lo
	v_mov_b32_e32 v7, v11
	global_store_b128 v[0:1], v[52:55], off
	v_mov_b32_e32 v0, v3
	v_fma_f64 v[90:91], v[209:210], s[0:1], v[118:119]
	global_store_b128 v[8:9], v[92:95], off
	v_lshlrev_b64 v[3:4], 4, v[4:5]
	v_lshlrev_b64 v[5:6], 4, v[6:7]
	v_mad_u64_u32 v[7:8], null, s9, v14, v[0:1]
	v_lshrrev_b32_e32 v8, 6, v10
	v_fma_f64 v[74:75], v[132:133], s[0:1], v[96:97]
	v_add_co_u32 v0, vcc_lo, v156, v3
	v_add_co_ci_u32_e32 v1, vcc_lo, v157, v4, vcc_lo
	s_delay_alu instid0(VALU_DEP_4) | instskip(SKIP_3) | instid1(VALU_DEP_4)
	v_mad_u32_u24 v13, 0x154, v8, v164
	v_add_co_u32 v4, vcc_lo, v156, v5
	v_add_co_ci_u32_e32 v5, vcc_lo, v157, v6, vcc_lo
	v_mov_b32_e32 v3, v7
	v_mad_u64_u32 v[6:7], null, s8, v13, 0
	v_add_nc_u32_e32 v12, 0x55, v13
	v_add_nc_u32_e32 v15, 0xaa, v13
	global_store_b128 v[0:1], v[84:87], off
	v_lshlrev_b64 v[0:1], 4, v[2:3]
	global_store_b128 v[4:5], v[80:83], off
	v_mad_u64_u32 v[2:3], null, s8, v12, 0
	v_mov_b32_e32 v4, v7
	v_mad_u64_u32 v[8:9], null, s8, v15, 0
	v_add_nc_u32_e32 v16, 0xff, v13
	v_add_co_u32 v0, vcc_lo, v156, v0
	s_delay_alu instid0(VALU_DEP_4)
	v_mad_u64_u32 v[10:11], null, s9, v13, v[4:5]
	v_mad_u64_u32 v[4:5], null, s9, v12, v[3:4]
	v_mov_b32_e32 v3, v9
	v_mad_u64_u32 v[11:12], null, s8, v16, 0
	v_add_nc_u32_e32 v17, 0x154, v13
	v_add_co_ci_u32_e32 v1, vcc_lo, v157, v1, vcc_lo
	v_fma_f64 v[72:73], v[183:184], s[0:1], v[122:123]
	v_fma_f64 v[64:65], v[179:180], s[0:1], v[104:105]
	v_mad_u64_u32 v[13:14], null, s9, v15, v[3:4]
	v_fma_f64 v[60:61], v[179:180], s[0:1], v[98:99]
	v_mov_b32_e32 v7, v10
	v_mad_u64_u32 v[14:15], null, s8, v17, 0
	v_fma_f64 v[68:69], v[183:184], s[0:1], v[138:139]
	global_store_b128 v[0:1], v[88:91], off
	v_mov_b32_e32 v0, v12
	v_mov_b32_e32 v3, v4
	v_lshlrev_b64 v[5:6], 4, v[6:7]
	v_mov_b32_e32 v9, v13
	s_delay_alu instid0(VALU_DEP_4) | instskip(NEXT) | instid1(VALU_DEP_4)
	v_mad_u64_u32 v[12:13], null, s9, v16, v[0:1]
	v_lshlrev_b64 v[1:2], 4, v[2:3]
	v_mov_b32_e32 v0, v15
	v_add_co_u32 v4, vcc_lo, v156, v5
	v_add_co_ci_u32_e32 v5, vcc_lo, v157, v6, vcc_lo
	s_delay_alu instid0(VALU_DEP_3)
	v_mad_u64_u32 v[6:7], null, s9, v17, v[0:1]
	v_lshlrev_b64 v[7:8], 4, v[8:9]
	v_add_co_u32 v0, vcc_lo, v156, v1
	v_add_co_ci_u32_e32 v1, vcc_lo, v157, v2, vcc_lo
	v_lshlrev_b64 v[2:3], 4, v[11:12]
	v_mov_b32_e32 v15, v6
	v_add_co_u32 v6, vcc_lo, v156, v7
	v_add_co_ci_u32_e32 v7, vcc_lo, v157, v8, vcc_lo
	s_delay_alu instid0(VALU_DEP_3) | instskip(SKIP_2) | instid1(VALU_DEP_3)
	v_lshlrev_b64 v[8:9], 4, v[14:15]
	v_add_co_u32 v2, vcc_lo, v156, v2
	v_add_co_ci_u32_e32 v3, vcc_lo, v157, v3, vcc_lo
	v_add_co_u32 v8, vcc_lo, v156, v8
	s_delay_alu instid0(VALU_DEP_4)
	v_add_co_ci_u32_e32 v9, vcc_lo, v157, v9, vcc_lo
	s_clause 0x4
	global_store_b128 v[4:5], v[48:51], off
	global_store_b128 v[0:1], v[72:75], off
	;; [unrolled: 1-line block ×5, first 2 shown]
.LBB0_18:
	s_nop 0
	s_sendmsg sendmsg(MSG_DEALLOC_VGPRS)
	s_endpgm
	.section	.rodata,"a",@progbits
	.p2align	6, 0x0
	.amdhsa_kernel fft_rtc_back_len425_factors_17_5_5_wgs_51_tpt_17_halfLds_dp_ip_CI_sbrr_dirReg
		.amdhsa_group_segment_fixed_size 0
		.amdhsa_private_segment_fixed_size 172
		.amdhsa_kernarg_size 88
		.amdhsa_user_sgpr_count 15
		.amdhsa_user_sgpr_dispatch_ptr 0
		.amdhsa_user_sgpr_queue_ptr 0
		.amdhsa_user_sgpr_kernarg_segment_ptr 1
		.amdhsa_user_sgpr_dispatch_id 0
		.amdhsa_user_sgpr_private_segment_size 0
		.amdhsa_wavefront_size32 1
		.amdhsa_uses_dynamic_stack 0
		.amdhsa_enable_private_segment 1
		.amdhsa_system_sgpr_workgroup_id_x 1
		.amdhsa_system_sgpr_workgroup_id_y 0
		.amdhsa_system_sgpr_workgroup_id_z 0
		.amdhsa_system_sgpr_workgroup_info 0
		.amdhsa_system_vgpr_workitem_id 0
		.amdhsa_next_free_vgpr 255
		.amdhsa_next_free_sgpr 58
		.amdhsa_reserve_vcc 1
		.amdhsa_float_round_mode_32 0
		.amdhsa_float_round_mode_16_64 0
		.amdhsa_float_denorm_mode_32 3
		.amdhsa_float_denorm_mode_16_64 3
		.amdhsa_dx10_clamp 1
		.amdhsa_ieee_mode 1
		.amdhsa_fp16_overflow 0
		.amdhsa_workgroup_processor_mode 1
		.amdhsa_memory_ordered 1
		.amdhsa_forward_progress 0
		.amdhsa_shared_vgpr_count 0
		.amdhsa_exception_fp_ieee_invalid_op 0
		.amdhsa_exception_fp_denorm_src 0
		.amdhsa_exception_fp_ieee_div_zero 0
		.amdhsa_exception_fp_ieee_overflow 0
		.amdhsa_exception_fp_ieee_underflow 0
		.amdhsa_exception_fp_ieee_inexact 0
		.amdhsa_exception_int_div_zero 0
	.end_amdhsa_kernel
	.text
.Lfunc_end0:
	.size	fft_rtc_back_len425_factors_17_5_5_wgs_51_tpt_17_halfLds_dp_ip_CI_sbrr_dirReg, .Lfunc_end0-fft_rtc_back_len425_factors_17_5_5_wgs_51_tpt_17_halfLds_dp_ip_CI_sbrr_dirReg
                                        ; -- End function
	.section	.AMDGPU.csdata,"",@progbits
; Kernel info:
; codeLenInByte = 26196
; NumSgprs: 60
; NumVgprs: 255
; ScratchSize: 172
; MemoryBound: 1
; FloatMode: 240
; IeeeMode: 1
; LDSByteSize: 0 bytes/workgroup (compile time only)
; SGPRBlocks: 7
; VGPRBlocks: 31
; NumSGPRsForWavesPerEU: 60
; NumVGPRsForWavesPerEU: 255
; Occupancy: 5
; WaveLimiterHint : 1
; COMPUTE_PGM_RSRC2:SCRATCH_EN: 1
; COMPUTE_PGM_RSRC2:USER_SGPR: 15
; COMPUTE_PGM_RSRC2:TRAP_HANDLER: 0
; COMPUTE_PGM_RSRC2:TGID_X_EN: 1
; COMPUTE_PGM_RSRC2:TGID_Y_EN: 0
; COMPUTE_PGM_RSRC2:TGID_Z_EN: 0
; COMPUTE_PGM_RSRC2:TIDIG_COMP_CNT: 0
	.text
	.p2alignl 7, 3214868480
	.fill 96, 4, 3214868480
	.type	__hip_cuid_f8f52dd6b6088003,@object ; @__hip_cuid_f8f52dd6b6088003
	.section	.bss,"aw",@nobits
	.globl	__hip_cuid_f8f52dd6b6088003
__hip_cuid_f8f52dd6b6088003:
	.byte	0                               ; 0x0
	.size	__hip_cuid_f8f52dd6b6088003, 1

	.ident	"AMD clang version 19.0.0git (https://github.com/RadeonOpenCompute/llvm-project roc-6.4.0 25133 c7fe45cf4b819c5991fe208aaa96edf142730f1d)"
	.section	".note.GNU-stack","",@progbits
	.addrsig
	.addrsig_sym __hip_cuid_f8f52dd6b6088003
	.amdgpu_metadata
---
amdhsa.kernels:
  - .args:
      - .actual_access:  read_only
        .address_space:  global
        .offset:         0
        .size:           8
        .value_kind:     global_buffer
      - .offset:         8
        .size:           8
        .value_kind:     by_value
      - .actual_access:  read_only
        .address_space:  global
        .offset:         16
        .size:           8
        .value_kind:     global_buffer
      - .actual_access:  read_only
        .address_space:  global
        .offset:         24
        .size:           8
        .value_kind:     global_buffer
      - .offset:         32
        .size:           8
        .value_kind:     by_value
      - .actual_access:  read_only
        .address_space:  global
        .offset:         40
        .size:           8
        .value_kind:     global_buffer
      - .actual_access:  read_only
        .address_space:  global
        .offset:         48
        .size:           8
        .value_kind:     global_buffer
      - .offset:         56
        .size:           4
        .value_kind:     by_value
      - .actual_access:  read_only
        .address_space:  global
        .offset:         64
        .size:           8
        .value_kind:     global_buffer
      - .actual_access:  read_only
        .address_space:  global
        .offset:         72
        .size:           8
        .value_kind:     global_buffer
      - .address_space:  global
        .offset:         80
        .size:           8
        .value_kind:     global_buffer
    .group_segment_fixed_size: 0
    .kernarg_segment_align: 8
    .kernarg_segment_size: 88
    .language:       OpenCL C
    .language_version:
      - 2
      - 0
    .max_flat_workgroup_size: 51
    .name:           fft_rtc_back_len425_factors_17_5_5_wgs_51_tpt_17_halfLds_dp_ip_CI_sbrr_dirReg
    .private_segment_fixed_size: 172
    .sgpr_count:     60
    .sgpr_spill_count: 0
    .symbol:         fft_rtc_back_len425_factors_17_5_5_wgs_51_tpt_17_halfLds_dp_ip_CI_sbrr_dirReg.kd
    .uniform_work_group_size: 1
    .uses_dynamic_stack: false
    .vgpr_count:     255
    .vgpr_spill_count: 122
    .wavefront_size: 32
    .workgroup_processor_mode: 1
amdhsa.target:   amdgcn-amd-amdhsa--gfx1100
amdhsa.version:
  - 1
  - 2
...

	.end_amdgpu_metadata
